;; amdgpu-corpus repo=ROCm/rocSPARSE kind=compiled arch=gfx906 opt=O3
	.amdgcn_target "amdgcn-amd-amdhsa--gfx906"
	.amdhsa_code_object_version 6
	.section	.text._ZN9rocsparseL10abs_kernelILi256EfEEviPKT0_PS1_,"axG",@progbits,_ZN9rocsparseL10abs_kernelILi256EfEEviPKT0_PS1_,comdat
	.globl	_ZN9rocsparseL10abs_kernelILi256EfEEviPKT0_PS1_ ; -- Begin function _ZN9rocsparseL10abs_kernelILi256EfEEviPKT0_PS1_
	.p2align	8
	.type	_ZN9rocsparseL10abs_kernelILi256EfEEviPKT0_PS1_,@function
_ZN9rocsparseL10abs_kernelILi256EfEEviPKT0_PS1_: ; @_ZN9rocsparseL10abs_kernelILi256EfEEviPKT0_PS1_
; %bb.0:
	s_load_dword s0, s[4:5], 0x0
	v_lshl_or_b32 v0, s6, 8, v0
	s_waitcnt lgkmcnt(0)
	v_cmp_gt_i32_e32 vcc, s0, v0
	s_and_saveexec_b64 s[0:1], vcc
	s_cbranch_execz .LBB0_2
; %bb.1:
	s_load_dwordx4 s[0:3], s[4:5], 0x8
	v_ashrrev_i32_e32 v1, 31, v0
	v_lshlrev_b64 v[0:1], 2, v[0:1]
	s_waitcnt lgkmcnt(0)
	v_mov_b32_e32 v3, s1
	v_add_co_u32_e32 v2, vcc, s0, v0
	v_addc_co_u32_e32 v3, vcc, v3, v1, vcc
	global_load_dword v2, v[2:3], off
	v_mov_b32_e32 v3, s3
	s_waitcnt vmcnt(0)
	v_cmp_gt_f32_e32 vcc, 0, v2
	v_cndmask_b32_e64 v2, v2, -v2, vcc
	v_add_co_u32_e32 v0, vcc, s2, v0
	v_addc_co_u32_e32 v1, vcc, v3, v1, vcc
	global_store_dword v[0:1], v2, off
.LBB0_2:
	s_endpgm
	.section	.rodata,"a",@progbits
	.p2align	6, 0x0
	.amdhsa_kernel _ZN9rocsparseL10abs_kernelILi256EfEEviPKT0_PS1_
		.amdhsa_group_segment_fixed_size 0
		.amdhsa_private_segment_fixed_size 0
		.amdhsa_kernarg_size 24
		.amdhsa_user_sgpr_count 6
		.amdhsa_user_sgpr_private_segment_buffer 1
		.amdhsa_user_sgpr_dispatch_ptr 0
		.amdhsa_user_sgpr_queue_ptr 0
		.amdhsa_user_sgpr_kernarg_segment_ptr 1
		.amdhsa_user_sgpr_dispatch_id 0
		.amdhsa_user_sgpr_flat_scratch_init 0
		.amdhsa_user_sgpr_private_segment_size 0
		.amdhsa_uses_dynamic_stack 0
		.amdhsa_system_sgpr_private_segment_wavefront_offset 0
		.amdhsa_system_sgpr_workgroup_id_x 1
		.amdhsa_system_sgpr_workgroup_id_y 0
		.amdhsa_system_sgpr_workgroup_id_z 0
		.amdhsa_system_sgpr_workgroup_info 0
		.amdhsa_system_vgpr_workitem_id 0
		.amdhsa_next_free_vgpr 4
		.amdhsa_next_free_sgpr 7
		.amdhsa_reserve_vcc 1
		.amdhsa_reserve_flat_scratch 0
		.amdhsa_float_round_mode_32 0
		.amdhsa_float_round_mode_16_64 0
		.amdhsa_float_denorm_mode_32 3
		.amdhsa_float_denorm_mode_16_64 3
		.amdhsa_dx10_clamp 1
		.amdhsa_ieee_mode 1
		.amdhsa_fp16_overflow 0
		.amdhsa_exception_fp_ieee_invalid_op 0
		.amdhsa_exception_fp_denorm_src 0
		.amdhsa_exception_fp_ieee_div_zero 0
		.amdhsa_exception_fp_ieee_overflow 0
		.amdhsa_exception_fp_ieee_underflow 0
		.amdhsa_exception_fp_ieee_inexact 0
		.amdhsa_exception_int_div_zero 0
	.end_amdhsa_kernel
	.section	.text._ZN9rocsparseL10abs_kernelILi256EfEEviPKT0_PS1_,"axG",@progbits,_ZN9rocsparseL10abs_kernelILi256EfEEviPKT0_PS1_,comdat
.Lfunc_end0:
	.size	_ZN9rocsparseL10abs_kernelILi256EfEEviPKT0_PS1_, .Lfunc_end0-_ZN9rocsparseL10abs_kernelILi256EfEEviPKT0_PS1_
                                        ; -- End function
	.set _ZN9rocsparseL10abs_kernelILi256EfEEviPKT0_PS1_.num_vgpr, 4
	.set _ZN9rocsparseL10abs_kernelILi256EfEEviPKT0_PS1_.num_agpr, 0
	.set _ZN9rocsparseL10abs_kernelILi256EfEEviPKT0_PS1_.numbered_sgpr, 7
	.set _ZN9rocsparseL10abs_kernelILi256EfEEviPKT0_PS1_.num_named_barrier, 0
	.set _ZN9rocsparseL10abs_kernelILi256EfEEviPKT0_PS1_.private_seg_size, 0
	.set _ZN9rocsparseL10abs_kernelILi256EfEEviPKT0_PS1_.uses_vcc, 1
	.set _ZN9rocsparseL10abs_kernelILi256EfEEviPKT0_PS1_.uses_flat_scratch, 0
	.set _ZN9rocsparseL10abs_kernelILi256EfEEviPKT0_PS1_.has_dyn_sized_stack, 0
	.set _ZN9rocsparseL10abs_kernelILi256EfEEviPKT0_PS1_.has_recursion, 0
	.set _ZN9rocsparseL10abs_kernelILi256EfEEviPKT0_PS1_.has_indirect_call, 0
	.section	.AMDGPU.csdata,"",@progbits
; Kernel info:
; codeLenInByte = 116
; TotalNumSgprs: 11
; NumVgprs: 4
; ScratchSize: 0
; MemoryBound: 0
; FloatMode: 240
; IeeeMode: 1
; LDSByteSize: 0 bytes/workgroup (compile time only)
; SGPRBlocks: 1
; VGPRBlocks: 0
; NumSGPRsForWavesPerEU: 11
; NumVGPRsForWavesPerEU: 4
; Occupancy: 10
; WaveLimiterHint : 0
; COMPUTE_PGM_RSRC2:SCRATCH_EN: 0
; COMPUTE_PGM_RSRC2:USER_SGPR: 6
; COMPUTE_PGM_RSRC2:TRAP_HANDLER: 0
; COMPUTE_PGM_RSRC2:TGID_X_EN: 1
; COMPUTE_PGM_RSRC2:TGID_Y_EN: 0
; COMPUTE_PGM_RSRC2:TGID_Z_EN: 0
; COMPUTE_PGM_RSRC2:TIDIG_COMP_CNT: 0
	.section	.text._ZN9rocsparseL10abs_kernelILi256EdEEviPKT0_PS1_,"axG",@progbits,_ZN9rocsparseL10abs_kernelILi256EdEEviPKT0_PS1_,comdat
	.globl	_ZN9rocsparseL10abs_kernelILi256EdEEviPKT0_PS1_ ; -- Begin function _ZN9rocsparseL10abs_kernelILi256EdEEviPKT0_PS1_
	.p2align	8
	.type	_ZN9rocsparseL10abs_kernelILi256EdEEviPKT0_PS1_,@function
_ZN9rocsparseL10abs_kernelILi256EdEEviPKT0_PS1_: ; @_ZN9rocsparseL10abs_kernelILi256EdEEviPKT0_PS1_
; %bb.0:
	s_load_dword s0, s[4:5], 0x0
	v_lshl_or_b32 v0, s6, 8, v0
	s_waitcnt lgkmcnt(0)
	v_cmp_gt_i32_e32 vcc, s0, v0
	s_and_saveexec_b64 s[0:1], vcc
	s_cbranch_execz .LBB1_2
; %bb.1:
	s_load_dwordx4 s[0:3], s[4:5], 0x8
	v_ashrrev_i32_e32 v1, 31, v0
	v_lshlrev_b64 v[0:1], 3, v[0:1]
	s_waitcnt lgkmcnt(0)
	v_mov_b32_e32 v3, s1
	v_add_co_u32_e32 v2, vcc, s0, v0
	v_addc_co_u32_e32 v3, vcc, v3, v1, vcc
	global_load_dwordx2 v[2:3], v[2:3], off
	v_mov_b32_e32 v4, s3
	s_waitcnt vmcnt(0)
	v_cmp_gt_f64_e32 vcc, 0, v[2:3]
	v_xor_b32_e32 v5, 0x80000000, v3
	v_cndmask_b32_e32 v3, v3, v5, vcc
	v_add_co_u32_e32 v0, vcc, s2, v0
	v_addc_co_u32_e32 v1, vcc, v4, v1, vcc
	global_store_dwordx2 v[0:1], v[2:3], off
.LBB1_2:
	s_endpgm
	.section	.rodata,"a",@progbits
	.p2align	6, 0x0
	.amdhsa_kernel _ZN9rocsparseL10abs_kernelILi256EdEEviPKT0_PS1_
		.amdhsa_group_segment_fixed_size 0
		.amdhsa_private_segment_fixed_size 0
		.amdhsa_kernarg_size 24
		.amdhsa_user_sgpr_count 6
		.amdhsa_user_sgpr_private_segment_buffer 1
		.amdhsa_user_sgpr_dispatch_ptr 0
		.amdhsa_user_sgpr_queue_ptr 0
		.amdhsa_user_sgpr_kernarg_segment_ptr 1
		.amdhsa_user_sgpr_dispatch_id 0
		.amdhsa_user_sgpr_flat_scratch_init 0
		.amdhsa_user_sgpr_private_segment_size 0
		.amdhsa_uses_dynamic_stack 0
		.amdhsa_system_sgpr_private_segment_wavefront_offset 0
		.amdhsa_system_sgpr_workgroup_id_x 1
		.amdhsa_system_sgpr_workgroup_id_y 0
		.amdhsa_system_sgpr_workgroup_id_z 0
		.amdhsa_system_sgpr_workgroup_info 0
		.amdhsa_system_vgpr_workitem_id 0
		.amdhsa_next_free_vgpr 6
		.amdhsa_next_free_sgpr 7
		.amdhsa_reserve_vcc 1
		.amdhsa_reserve_flat_scratch 0
		.amdhsa_float_round_mode_32 0
		.amdhsa_float_round_mode_16_64 0
		.amdhsa_float_denorm_mode_32 3
		.amdhsa_float_denorm_mode_16_64 3
		.amdhsa_dx10_clamp 1
		.amdhsa_ieee_mode 1
		.amdhsa_fp16_overflow 0
		.amdhsa_exception_fp_ieee_invalid_op 0
		.amdhsa_exception_fp_denorm_src 0
		.amdhsa_exception_fp_ieee_div_zero 0
		.amdhsa_exception_fp_ieee_overflow 0
		.amdhsa_exception_fp_ieee_underflow 0
		.amdhsa_exception_fp_ieee_inexact 0
		.amdhsa_exception_int_div_zero 0
	.end_amdhsa_kernel
	.section	.text._ZN9rocsparseL10abs_kernelILi256EdEEviPKT0_PS1_,"axG",@progbits,_ZN9rocsparseL10abs_kernelILi256EdEEviPKT0_PS1_,comdat
.Lfunc_end1:
	.size	_ZN9rocsparseL10abs_kernelILi256EdEEviPKT0_PS1_, .Lfunc_end1-_ZN9rocsparseL10abs_kernelILi256EdEEviPKT0_PS1_
                                        ; -- End function
	.set _ZN9rocsparseL10abs_kernelILi256EdEEviPKT0_PS1_.num_vgpr, 6
	.set _ZN9rocsparseL10abs_kernelILi256EdEEviPKT0_PS1_.num_agpr, 0
	.set _ZN9rocsparseL10abs_kernelILi256EdEEviPKT0_PS1_.numbered_sgpr, 7
	.set _ZN9rocsparseL10abs_kernelILi256EdEEviPKT0_PS1_.num_named_barrier, 0
	.set _ZN9rocsparseL10abs_kernelILi256EdEEviPKT0_PS1_.private_seg_size, 0
	.set _ZN9rocsparseL10abs_kernelILi256EdEEviPKT0_PS1_.uses_vcc, 1
	.set _ZN9rocsparseL10abs_kernelILi256EdEEviPKT0_PS1_.uses_flat_scratch, 0
	.set _ZN9rocsparseL10abs_kernelILi256EdEEviPKT0_PS1_.has_dyn_sized_stack, 0
	.set _ZN9rocsparseL10abs_kernelILi256EdEEviPKT0_PS1_.has_recursion, 0
	.set _ZN9rocsparseL10abs_kernelILi256EdEEviPKT0_PS1_.has_indirect_call, 0
	.section	.AMDGPU.csdata,"",@progbits
; Kernel info:
; codeLenInByte = 120
; TotalNumSgprs: 11
; NumVgprs: 6
; ScratchSize: 0
; MemoryBound: 0
; FloatMode: 240
; IeeeMode: 1
; LDSByteSize: 0 bytes/workgroup (compile time only)
; SGPRBlocks: 1
; VGPRBlocks: 1
; NumSGPRsForWavesPerEU: 11
; NumVGPRsForWavesPerEU: 6
; Occupancy: 10
; WaveLimiterHint : 0
; COMPUTE_PGM_RSRC2:SCRATCH_EN: 0
; COMPUTE_PGM_RSRC2:USER_SGPR: 6
; COMPUTE_PGM_RSRC2:TRAP_HANDLER: 0
; COMPUTE_PGM_RSRC2:TGID_X_EN: 1
; COMPUTE_PGM_RSRC2:TGID_Y_EN: 0
; COMPUTE_PGM_RSRC2:TGID_Z_EN: 0
; COMPUTE_PGM_RSRC2:TIDIG_COMP_CNT: 0
	.section	.text._ZN9rocsparseL23csr2csr_compress_kernelILi1024ELi512ELi2ELi32EfEEvii21rocsparse_index_base_PKT3_PKiS6_iS1_PS2_S6_PiNS_24const_host_device_scalarIS2_EEb,"axG",@progbits,_ZN9rocsparseL23csr2csr_compress_kernelILi1024ELi512ELi2ELi32EfEEvii21rocsparse_index_base_PKT3_PKiS6_iS1_PS2_S6_PiNS_24const_host_device_scalarIS2_EEb,comdat
	.globl	_ZN9rocsparseL23csr2csr_compress_kernelILi1024ELi512ELi2ELi32EfEEvii21rocsparse_index_base_PKT3_PKiS6_iS1_PS2_S6_PiNS_24const_host_device_scalarIS2_EEb ; -- Begin function _ZN9rocsparseL23csr2csr_compress_kernelILi1024ELi512ELi2ELi32EfEEvii21rocsparse_index_base_PKT3_PKiS6_iS1_PS2_S6_PiNS_24const_host_device_scalarIS2_EEb
	.p2align	8
	.type	_ZN9rocsparseL23csr2csr_compress_kernelILi1024ELi512ELi2ELi32EfEEvii21rocsparse_index_base_PKT3_PKiS6_iS1_PS2_S6_PiNS_24const_host_device_scalarIS2_EEb,@function
_ZN9rocsparseL23csr2csr_compress_kernelILi1024ELi512ELi2ELi32EfEEvii21rocsparse_index_base_PKT3_PKiS6_iS1_PS2_S6_PiNS_24const_host_device_scalarIS2_EEb: ; @_ZN9rocsparseL23csr2csr_compress_kernelILi1024ELi512ELi2ELi32EfEEvii21rocsparse_index_base_PKT3_PKiS6_iS1_PS2_S6_PiNS_24const_host_device_scalarIS2_EEb
; %bb.0:
	s_load_dword s0, s[4:5], 0x50
	s_load_dwordx2 s[2:3], s[4:5], 0x48
	s_waitcnt lgkmcnt(0)
	s_bitcmp1_b32 s0, 0
	s_cselect_b64 s[0:1], -1, 0
	s_and_b64 vcc, exec, s[0:1]
	s_cbranch_vccnz .LBB2_2
; %bb.1:
	s_load_dword s2, s[2:3], 0x0
.LBB2_2:
	s_nop 0
	s_load_dword s0, s[4:5], 0x0
	v_lshrrev_b32_e32 v1, 1, v0
	v_lshl_or_b32 v1, s6, 9, v1
	s_waitcnt lgkmcnt(0)
	v_cmp_gt_i32_e32 vcc, s0, v1
	s_and_saveexec_b64 s[0:1], vcc
	s_cbranch_execz .LBB2_8
; %bb.3:
	s_load_dwordx2 s[6:7], s[4:5], 0x18
	s_load_dword s0, s[4:5], 0x8
	v_ashrrev_i32_e32 v2, 31, v1
	v_lshlrev_b64 v[2:3], 2, v[1:2]
	s_waitcnt lgkmcnt(0)
	v_mov_b32_e32 v1, s7
	v_add_co_u32_e32 v4, vcc, s6, v2
	v_addc_co_u32_e32 v5, vcc, v1, v3, vcc
	global_load_dwordx2 v[5:6], v[4:5], off
	v_and_b32_e32 v4, 1, v0
	v_subrev_u32_e32 v1, s0, v4
	s_waitcnt vmcnt(0)
	v_subrev_u32_e32 v7, s0, v6
	v_add_u32_e32 v1, v5, v1
	v_cmp_lt_i32_e32 vcc, v1, v7
	s_and_b64 exec, exec, vcc
	s_cbranch_execz .LBB2_8
; %bb.4:
	s_load_dwordx4 s[8:11], s[4:5], 0x30
	s_load_dwordx2 s[6:7], s[4:5], 0x40
	v_and_b32_e32 v0, 30, v0
	s_waitcnt lgkmcnt(0)
	v_mov_b32_e32 v5, s11
	v_add_co_u32_e32 v2, vcc, s10, v2
	v_addc_co_u32_e32 v3, vcc, v5, v3, vcc
	global_load_dword v5, v[2:3], off
	s_load_dwordx2 s[10:11], s[4:5], 0x10
	s_load_dwordx2 s[12:13], s[4:5], 0x20
	s_load_dword s1, s[4:5], 0x2c
	v_not_b32_e32 v2, v4
	v_mov_b32_e32 v3, 0
	v_mbcnt_lo_u32_b32 v4, -1, 0
	v_lshrrev_b32_e64 v2, v2, -1
	v_mbcnt_hi_u32_b32 v6, -1, v4
	v_lshlrev_b64 v[3:4], v0, v[2:3]
	s_mov_b64 s[4:5], 0
	v_lshl_or_b32 v0, v6, 2, 4
	s_waitcnt lgkmcnt(0)
	s_sub_i32 s3, s1, s0
	v_mov_b32_e32 v8, s11
	s_mov_b32 s11, 0x800000
	s_waitcnt vmcnt(0)
	v_subrev_u32_e32 v9, s1, v5
	s_branch .LBB2_6
.LBB2_5:                                ;   in Loop: Header=BB2_6 Depth=1
	s_or_b64 exec, exec, s[0:1]
	ds_bpermute_b32 v2, v0, v10
	v_add_u32_e32 v1, 2, v1
	v_cmp_ge_i32_e32 vcc, v1, v7
	s_or_b64 s[4:5], vcc, s[4:5]
	s_waitcnt lgkmcnt(0)
	v_add_u32_e32 v9, v2, v9
	s_andn2_b64 exec, exec, s[4:5]
	s_cbranch_execz .LBB2_8
.LBB2_6:                                ; =>This Inner Loop Header: Depth=1
	v_ashrrev_i32_e32 v2, 31, v1
	v_lshlrev_b64 v[5:6], 2, v[1:2]
	v_add_co_u32_e32 v10, vcc, s10, v5
	v_addc_co_u32_e32 v11, vcc, v8, v6, vcc
	global_load_dword v2, v[10:11], off
	s_waitcnt vmcnt(0)
	v_cmp_gt_f32_e32 vcc, 0, v2
	v_cndmask_b32_e64 v10, v2, -v2, vcc
	v_cmp_lt_f32_e32 vcc, s2, v10
	v_cmp_lt_f32_e64 s[0:1], s11, v10
	s_and_b64 s[14:15], vcc, s[0:1]
	v_cndmask_b32_e64 v10, 0, 1, s[14:15]
	v_cmp_ne_u32_e32 vcc, 0, v10
	v_and_b32_e32 v11, vcc_lo, v3
	v_and_b32_e32 v10, vcc_hi, v4
	v_bcnt_u32_b32 v11, v11, 0
	v_bcnt_u32_b32 v10, v10, v11
	s_and_saveexec_b64 s[0:1], s[14:15]
	s_cbranch_execz .LBB2_5
; %bb.7:                                ;   in Loop: Header=BB2_6 Depth=1
	v_mov_b32_e32 v11, s13
	v_add_co_u32_e32 v5, vcc, s12, v5
	v_addc_co_u32_e32 v6, vcc, v11, v6, vcc
	global_load_dword v13, v[5:6], off
	v_ashrrev_i32_e32 v6, 31, v9
	v_add_co_u32_e32 v5, vcc, v9, v10
	v_addc_co_u32_e32 v6, vcc, 0, v6, vcc
	v_lshlrev_b64 v[5:6], 2, v[5:6]
	v_mov_b32_e32 v12, s9
	v_add_co_u32_e32 v11, vcc, s8, v5
	v_addc_co_u32_e32 v12, vcc, v12, v6, vcc
	v_mov_b32_e32 v14, s7
	v_add_co_u32_e32 v5, vcc, s6, v5
	global_store_dword v[11:12], v2, off offset:-4
	v_addc_co_u32_e32 v6, vcc, v14, v6, vcc
	s_waitcnt vmcnt(1)
	v_add_u32_e32 v2, s3, v13
	global_store_dword v[5:6], v2, off offset:-4
	s_branch .LBB2_5
.LBB2_8:
	s_endpgm
	.section	.rodata,"a",@progbits
	.p2align	6, 0x0
	.amdhsa_kernel _ZN9rocsparseL23csr2csr_compress_kernelILi1024ELi512ELi2ELi32EfEEvii21rocsparse_index_base_PKT3_PKiS6_iS1_PS2_S6_PiNS_24const_host_device_scalarIS2_EEb
		.amdhsa_group_segment_fixed_size 0
		.amdhsa_private_segment_fixed_size 0
		.amdhsa_kernarg_size 84
		.amdhsa_user_sgpr_count 6
		.amdhsa_user_sgpr_private_segment_buffer 1
		.amdhsa_user_sgpr_dispatch_ptr 0
		.amdhsa_user_sgpr_queue_ptr 0
		.amdhsa_user_sgpr_kernarg_segment_ptr 1
		.amdhsa_user_sgpr_dispatch_id 0
		.amdhsa_user_sgpr_flat_scratch_init 0
		.amdhsa_user_sgpr_private_segment_size 0
		.amdhsa_uses_dynamic_stack 0
		.amdhsa_system_sgpr_private_segment_wavefront_offset 0
		.amdhsa_system_sgpr_workgroup_id_x 1
		.amdhsa_system_sgpr_workgroup_id_y 0
		.amdhsa_system_sgpr_workgroup_id_z 0
		.amdhsa_system_sgpr_workgroup_info 0
		.amdhsa_system_vgpr_workitem_id 0
		.amdhsa_next_free_vgpr 15
		.amdhsa_next_free_sgpr 16
		.amdhsa_reserve_vcc 1
		.amdhsa_reserve_flat_scratch 0
		.amdhsa_float_round_mode_32 0
		.amdhsa_float_round_mode_16_64 0
		.amdhsa_float_denorm_mode_32 3
		.amdhsa_float_denorm_mode_16_64 3
		.amdhsa_dx10_clamp 1
		.amdhsa_ieee_mode 1
		.amdhsa_fp16_overflow 0
		.amdhsa_exception_fp_ieee_invalid_op 0
		.amdhsa_exception_fp_denorm_src 0
		.amdhsa_exception_fp_ieee_div_zero 0
		.amdhsa_exception_fp_ieee_overflow 0
		.amdhsa_exception_fp_ieee_underflow 0
		.amdhsa_exception_fp_ieee_inexact 0
		.amdhsa_exception_int_div_zero 0
	.end_amdhsa_kernel
	.section	.text._ZN9rocsparseL23csr2csr_compress_kernelILi1024ELi512ELi2ELi32EfEEvii21rocsparse_index_base_PKT3_PKiS6_iS1_PS2_S6_PiNS_24const_host_device_scalarIS2_EEb,"axG",@progbits,_ZN9rocsparseL23csr2csr_compress_kernelILi1024ELi512ELi2ELi32EfEEvii21rocsparse_index_base_PKT3_PKiS6_iS1_PS2_S6_PiNS_24const_host_device_scalarIS2_EEb,comdat
.Lfunc_end2:
	.size	_ZN9rocsparseL23csr2csr_compress_kernelILi1024ELi512ELi2ELi32EfEEvii21rocsparse_index_base_PKT3_PKiS6_iS1_PS2_S6_PiNS_24const_host_device_scalarIS2_EEb, .Lfunc_end2-_ZN9rocsparseL23csr2csr_compress_kernelILi1024ELi512ELi2ELi32EfEEvii21rocsparse_index_base_PKT3_PKiS6_iS1_PS2_S6_PiNS_24const_host_device_scalarIS2_EEb
                                        ; -- End function
	.set _ZN9rocsparseL23csr2csr_compress_kernelILi1024ELi512ELi2ELi32EfEEvii21rocsparse_index_base_PKT3_PKiS6_iS1_PS2_S6_PiNS_24const_host_device_scalarIS2_EEb.num_vgpr, 15
	.set _ZN9rocsparseL23csr2csr_compress_kernelILi1024ELi512ELi2ELi32EfEEvii21rocsparse_index_base_PKT3_PKiS6_iS1_PS2_S6_PiNS_24const_host_device_scalarIS2_EEb.num_agpr, 0
	.set _ZN9rocsparseL23csr2csr_compress_kernelILi1024ELi512ELi2ELi32EfEEvii21rocsparse_index_base_PKT3_PKiS6_iS1_PS2_S6_PiNS_24const_host_device_scalarIS2_EEb.numbered_sgpr, 16
	.set _ZN9rocsparseL23csr2csr_compress_kernelILi1024ELi512ELi2ELi32EfEEvii21rocsparse_index_base_PKT3_PKiS6_iS1_PS2_S6_PiNS_24const_host_device_scalarIS2_EEb.num_named_barrier, 0
	.set _ZN9rocsparseL23csr2csr_compress_kernelILi1024ELi512ELi2ELi32EfEEvii21rocsparse_index_base_PKT3_PKiS6_iS1_PS2_S6_PiNS_24const_host_device_scalarIS2_EEb.private_seg_size, 0
	.set _ZN9rocsparseL23csr2csr_compress_kernelILi1024ELi512ELi2ELi32EfEEvii21rocsparse_index_base_PKT3_PKiS6_iS1_PS2_S6_PiNS_24const_host_device_scalarIS2_EEb.uses_vcc, 1
	.set _ZN9rocsparseL23csr2csr_compress_kernelILi1024ELi512ELi2ELi32EfEEvii21rocsparse_index_base_PKT3_PKiS6_iS1_PS2_S6_PiNS_24const_host_device_scalarIS2_EEb.uses_flat_scratch, 0
	.set _ZN9rocsparseL23csr2csr_compress_kernelILi1024ELi512ELi2ELi32EfEEvii21rocsparse_index_base_PKT3_PKiS6_iS1_PS2_S6_PiNS_24const_host_device_scalarIS2_EEb.has_dyn_sized_stack, 0
	.set _ZN9rocsparseL23csr2csr_compress_kernelILi1024ELi512ELi2ELi32EfEEvii21rocsparse_index_base_PKT3_PKiS6_iS1_PS2_S6_PiNS_24const_host_device_scalarIS2_EEb.has_recursion, 0
	.set _ZN9rocsparseL23csr2csr_compress_kernelILi1024ELi512ELi2ELi32EfEEvii21rocsparse_index_base_PKT3_PKiS6_iS1_PS2_S6_PiNS_24const_host_device_scalarIS2_EEb.has_indirect_call, 0
	.section	.AMDGPU.csdata,"",@progbits
; Kernel info:
; codeLenInByte = 560
; TotalNumSgprs: 20
; NumVgprs: 15
; ScratchSize: 0
; MemoryBound: 0
; FloatMode: 240
; IeeeMode: 1
; LDSByteSize: 0 bytes/workgroup (compile time only)
; SGPRBlocks: 2
; VGPRBlocks: 3
; NumSGPRsForWavesPerEU: 20
; NumVGPRsForWavesPerEU: 15
; Occupancy: 10
; WaveLimiterHint : 0
; COMPUTE_PGM_RSRC2:SCRATCH_EN: 0
; COMPUTE_PGM_RSRC2:USER_SGPR: 6
; COMPUTE_PGM_RSRC2:TRAP_HANDLER: 0
; COMPUTE_PGM_RSRC2:TGID_X_EN: 1
; COMPUTE_PGM_RSRC2:TGID_Y_EN: 0
; COMPUTE_PGM_RSRC2:TGID_Z_EN: 0
; COMPUTE_PGM_RSRC2:TIDIG_COMP_CNT: 0
	.section	.text._ZN9rocsparseL23csr2csr_compress_kernelILi1024ELi256ELi4ELi32EfEEvii21rocsparse_index_base_PKT3_PKiS6_iS1_PS2_S6_PiNS_24const_host_device_scalarIS2_EEb,"axG",@progbits,_ZN9rocsparseL23csr2csr_compress_kernelILi1024ELi256ELi4ELi32EfEEvii21rocsparse_index_base_PKT3_PKiS6_iS1_PS2_S6_PiNS_24const_host_device_scalarIS2_EEb,comdat
	.globl	_ZN9rocsparseL23csr2csr_compress_kernelILi1024ELi256ELi4ELi32EfEEvii21rocsparse_index_base_PKT3_PKiS6_iS1_PS2_S6_PiNS_24const_host_device_scalarIS2_EEb ; -- Begin function _ZN9rocsparseL23csr2csr_compress_kernelILi1024ELi256ELi4ELi32EfEEvii21rocsparse_index_base_PKT3_PKiS6_iS1_PS2_S6_PiNS_24const_host_device_scalarIS2_EEb
	.p2align	8
	.type	_ZN9rocsparseL23csr2csr_compress_kernelILi1024ELi256ELi4ELi32EfEEvii21rocsparse_index_base_PKT3_PKiS6_iS1_PS2_S6_PiNS_24const_host_device_scalarIS2_EEb,@function
_ZN9rocsparseL23csr2csr_compress_kernelILi1024ELi256ELi4ELi32EfEEvii21rocsparse_index_base_PKT3_PKiS6_iS1_PS2_S6_PiNS_24const_host_device_scalarIS2_EEb: ; @_ZN9rocsparseL23csr2csr_compress_kernelILi1024ELi256ELi4ELi32EfEEvii21rocsparse_index_base_PKT3_PKiS6_iS1_PS2_S6_PiNS_24const_host_device_scalarIS2_EEb
; %bb.0:
	s_load_dword s0, s[4:5], 0x50
	s_load_dwordx2 s[2:3], s[4:5], 0x48
	s_waitcnt lgkmcnt(0)
	s_bitcmp1_b32 s0, 0
	s_cselect_b64 s[0:1], -1, 0
	s_and_b64 vcc, exec, s[0:1]
	s_cbranch_vccnz .LBB3_2
; %bb.1:
	s_load_dword s2, s[2:3], 0x0
.LBB3_2:
	s_nop 0
	s_load_dword s0, s[4:5], 0x0
	v_lshrrev_b32_e32 v1, 2, v0
	v_lshl_or_b32 v1, s6, 8, v1
	s_waitcnt lgkmcnt(0)
	v_cmp_gt_i32_e32 vcc, s0, v1
	s_and_saveexec_b64 s[0:1], vcc
	s_cbranch_execz .LBB3_8
; %bb.3:
	s_load_dwordx2 s[6:7], s[4:5], 0x18
	s_load_dword s0, s[4:5], 0x8
	v_ashrrev_i32_e32 v2, 31, v1
	v_lshlrev_b64 v[2:3], 2, v[1:2]
	s_waitcnt lgkmcnt(0)
	v_mov_b32_e32 v1, s7
	v_add_co_u32_e32 v4, vcc, s6, v2
	v_addc_co_u32_e32 v5, vcc, v1, v3, vcc
	global_load_dwordx2 v[5:6], v[4:5], off
	v_and_b32_e32 v4, 3, v0
	v_subrev_u32_e32 v1, s0, v4
	s_waitcnt vmcnt(0)
	v_subrev_u32_e32 v7, s0, v6
	v_add_u32_e32 v1, v5, v1
	v_cmp_lt_i32_e32 vcc, v1, v7
	s_and_b64 exec, exec, vcc
	s_cbranch_execz .LBB3_8
; %bb.4:
	s_load_dwordx4 s[8:11], s[4:5], 0x30
	s_load_dwordx2 s[6:7], s[4:5], 0x40
	v_and_b32_e32 v0, 28, v0
	s_waitcnt lgkmcnt(0)
	v_mov_b32_e32 v5, s11
	v_add_co_u32_e32 v2, vcc, s10, v2
	v_addc_co_u32_e32 v3, vcc, v5, v3, vcc
	global_load_dword v5, v[2:3], off
	s_load_dwordx2 s[10:11], s[4:5], 0x10
	s_load_dwordx2 s[12:13], s[4:5], 0x20
	s_load_dword s1, s[4:5], 0x2c
	v_not_b32_e32 v2, v4
	v_mov_b32_e32 v3, 0
	v_mbcnt_lo_u32_b32 v4, -1, 0
	v_lshrrev_b32_e64 v2, v2, -1
	v_mbcnt_hi_u32_b32 v6, -1, v4
	v_lshlrev_b64 v[3:4], v0, v[2:3]
	s_mov_b64 s[4:5], 0
	v_lshl_or_b32 v0, v6, 2, 12
	s_waitcnt lgkmcnt(0)
	s_sub_i32 s3, s1, s0
	v_mov_b32_e32 v8, s11
	s_mov_b32 s11, 0x800000
	s_waitcnt vmcnt(0)
	v_subrev_u32_e32 v9, s1, v5
	s_branch .LBB3_6
.LBB3_5:                                ;   in Loop: Header=BB3_6 Depth=1
	s_or_b64 exec, exec, s[0:1]
	ds_bpermute_b32 v2, v0, v10
	v_add_u32_e32 v1, 4, v1
	v_cmp_ge_i32_e32 vcc, v1, v7
	s_or_b64 s[4:5], vcc, s[4:5]
	s_waitcnt lgkmcnt(0)
	v_add_u32_e32 v9, v2, v9
	s_andn2_b64 exec, exec, s[4:5]
	s_cbranch_execz .LBB3_8
.LBB3_6:                                ; =>This Inner Loop Header: Depth=1
	v_ashrrev_i32_e32 v2, 31, v1
	v_lshlrev_b64 v[5:6], 2, v[1:2]
	v_add_co_u32_e32 v10, vcc, s10, v5
	v_addc_co_u32_e32 v11, vcc, v8, v6, vcc
	global_load_dword v2, v[10:11], off
	s_waitcnt vmcnt(0)
	v_cmp_gt_f32_e32 vcc, 0, v2
	v_cndmask_b32_e64 v10, v2, -v2, vcc
	v_cmp_lt_f32_e32 vcc, s2, v10
	v_cmp_lt_f32_e64 s[0:1], s11, v10
	s_and_b64 s[14:15], vcc, s[0:1]
	v_cndmask_b32_e64 v10, 0, 1, s[14:15]
	v_cmp_ne_u32_e32 vcc, 0, v10
	v_and_b32_e32 v11, vcc_lo, v3
	v_and_b32_e32 v10, vcc_hi, v4
	v_bcnt_u32_b32 v11, v11, 0
	v_bcnt_u32_b32 v10, v10, v11
	s_and_saveexec_b64 s[0:1], s[14:15]
	s_cbranch_execz .LBB3_5
; %bb.7:                                ;   in Loop: Header=BB3_6 Depth=1
	v_mov_b32_e32 v11, s13
	v_add_co_u32_e32 v5, vcc, s12, v5
	v_addc_co_u32_e32 v6, vcc, v11, v6, vcc
	global_load_dword v13, v[5:6], off
	v_ashrrev_i32_e32 v6, 31, v9
	v_add_co_u32_e32 v5, vcc, v9, v10
	v_addc_co_u32_e32 v6, vcc, 0, v6, vcc
	v_lshlrev_b64 v[5:6], 2, v[5:6]
	v_mov_b32_e32 v12, s9
	v_add_co_u32_e32 v11, vcc, s8, v5
	v_addc_co_u32_e32 v12, vcc, v12, v6, vcc
	v_mov_b32_e32 v14, s7
	v_add_co_u32_e32 v5, vcc, s6, v5
	global_store_dword v[11:12], v2, off offset:-4
	v_addc_co_u32_e32 v6, vcc, v14, v6, vcc
	s_waitcnt vmcnt(1)
	v_add_u32_e32 v2, s3, v13
	global_store_dword v[5:6], v2, off offset:-4
	s_branch .LBB3_5
.LBB3_8:
	s_endpgm
	.section	.rodata,"a",@progbits
	.p2align	6, 0x0
	.amdhsa_kernel _ZN9rocsparseL23csr2csr_compress_kernelILi1024ELi256ELi4ELi32EfEEvii21rocsparse_index_base_PKT3_PKiS6_iS1_PS2_S6_PiNS_24const_host_device_scalarIS2_EEb
		.amdhsa_group_segment_fixed_size 0
		.amdhsa_private_segment_fixed_size 0
		.amdhsa_kernarg_size 84
		.amdhsa_user_sgpr_count 6
		.amdhsa_user_sgpr_private_segment_buffer 1
		.amdhsa_user_sgpr_dispatch_ptr 0
		.amdhsa_user_sgpr_queue_ptr 0
		.amdhsa_user_sgpr_kernarg_segment_ptr 1
		.amdhsa_user_sgpr_dispatch_id 0
		.amdhsa_user_sgpr_flat_scratch_init 0
		.amdhsa_user_sgpr_private_segment_size 0
		.amdhsa_uses_dynamic_stack 0
		.amdhsa_system_sgpr_private_segment_wavefront_offset 0
		.amdhsa_system_sgpr_workgroup_id_x 1
		.amdhsa_system_sgpr_workgroup_id_y 0
		.amdhsa_system_sgpr_workgroup_id_z 0
		.amdhsa_system_sgpr_workgroup_info 0
		.amdhsa_system_vgpr_workitem_id 0
		.amdhsa_next_free_vgpr 15
		.amdhsa_next_free_sgpr 16
		.amdhsa_reserve_vcc 1
		.amdhsa_reserve_flat_scratch 0
		.amdhsa_float_round_mode_32 0
		.amdhsa_float_round_mode_16_64 0
		.amdhsa_float_denorm_mode_32 3
		.amdhsa_float_denorm_mode_16_64 3
		.amdhsa_dx10_clamp 1
		.amdhsa_ieee_mode 1
		.amdhsa_fp16_overflow 0
		.amdhsa_exception_fp_ieee_invalid_op 0
		.amdhsa_exception_fp_denorm_src 0
		.amdhsa_exception_fp_ieee_div_zero 0
		.amdhsa_exception_fp_ieee_overflow 0
		.amdhsa_exception_fp_ieee_underflow 0
		.amdhsa_exception_fp_ieee_inexact 0
		.amdhsa_exception_int_div_zero 0
	.end_amdhsa_kernel
	.section	.text._ZN9rocsparseL23csr2csr_compress_kernelILi1024ELi256ELi4ELi32EfEEvii21rocsparse_index_base_PKT3_PKiS6_iS1_PS2_S6_PiNS_24const_host_device_scalarIS2_EEb,"axG",@progbits,_ZN9rocsparseL23csr2csr_compress_kernelILi1024ELi256ELi4ELi32EfEEvii21rocsparse_index_base_PKT3_PKiS6_iS1_PS2_S6_PiNS_24const_host_device_scalarIS2_EEb,comdat
.Lfunc_end3:
	.size	_ZN9rocsparseL23csr2csr_compress_kernelILi1024ELi256ELi4ELi32EfEEvii21rocsparse_index_base_PKT3_PKiS6_iS1_PS2_S6_PiNS_24const_host_device_scalarIS2_EEb, .Lfunc_end3-_ZN9rocsparseL23csr2csr_compress_kernelILi1024ELi256ELi4ELi32EfEEvii21rocsparse_index_base_PKT3_PKiS6_iS1_PS2_S6_PiNS_24const_host_device_scalarIS2_EEb
                                        ; -- End function
	.set _ZN9rocsparseL23csr2csr_compress_kernelILi1024ELi256ELi4ELi32EfEEvii21rocsparse_index_base_PKT3_PKiS6_iS1_PS2_S6_PiNS_24const_host_device_scalarIS2_EEb.num_vgpr, 15
	.set _ZN9rocsparseL23csr2csr_compress_kernelILi1024ELi256ELi4ELi32EfEEvii21rocsparse_index_base_PKT3_PKiS6_iS1_PS2_S6_PiNS_24const_host_device_scalarIS2_EEb.num_agpr, 0
	.set _ZN9rocsparseL23csr2csr_compress_kernelILi1024ELi256ELi4ELi32EfEEvii21rocsparse_index_base_PKT3_PKiS6_iS1_PS2_S6_PiNS_24const_host_device_scalarIS2_EEb.numbered_sgpr, 16
	.set _ZN9rocsparseL23csr2csr_compress_kernelILi1024ELi256ELi4ELi32EfEEvii21rocsparse_index_base_PKT3_PKiS6_iS1_PS2_S6_PiNS_24const_host_device_scalarIS2_EEb.num_named_barrier, 0
	.set _ZN9rocsparseL23csr2csr_compress_kernelILi1024ELi256ELi4ELi32EfEEvii21rocsparse_index_base_PKT3_PKiS6_iS1_PS2_S6_PiNS_24const_host_device_scalarIS2_EEb.private_seg_size, 0
	.set _ZN9rocsparseL23csr2csr_compress_kernelILi1024ELi256ELi4ELi32EfEEvii21rocsparse_index_base_PKT3_PKiS6_iS1_PS2_S6_PiNS_24const_host_device_scalarIS2_EEb.uses_vcc, 1
	.set _ZN9rocsparseL23csr2csr_compress_kernelILi1024ELi256ELi4ELi32EfEEvii21rocsparse_index_base_PKT3_PKiS6_iS1_PS2_S6_PiNS_24const_host_device_scalarIS2_EEb.uses_flat_scratch, 0
	.set _ZN9rocsparseL23csr2csr_compress_kernelILi1024ELi256ELi4ELi32EfEEvii21rocsparse_index_base_PKT3_PKiS6_iS1_PS2_S6_PiNS_24const_host_device_scalarIS2_EEb.has_dyn_sized_stack, 0
	.set _ZN9rocsparseL23csr2csr_compress_kernelILi1024ELi256ELi4ELi32EfEEvii21rocsparse_index_base_PKT3_PKiS6_iS1_PS2_S6_PiNS_24const_host_device_scalarIS2_EEb.has_recursion, 0
	.set _ZN9rocsparseL23csr2csr_compress_kernelILi1024ELi256ELi4ELi32EfEEvii21rocsparse_index_base_PKT3_PKiS6_iS1_PS2_S6_PiNS_24const_host_device_scalarIS2_EEb.has_indirect_call, 0
	.section	.AMDGPU.csdata,"",@progbits
; Kernel info:
; codeLenInByte = 560
; TotalNumSgprs: 20
; NumVgprs: 15
; ScratchSize: 0
; MemoryBound: 0
; FloatMode: 240
; IeeeMode: 1
; LDSByteSize: 0 bytes/workgroup (compile time only)
; SGPRBlocks: 2
; VGPRBlocks: 3
; NumSGPRsForWavesPerEU: 20
; NumVGPRsForWavesPerEU: 15
; Occupancy: 10
; WaveLimiterHint : 0
; COMPUTE_PGM_RSRC2:SCRATCH_EN: 0
; COMPUTE_PGM_RSRC2:USER_SGPR: 6
; COMPUTE_PGM_RSRC2:TRAP_HANDLER: 0
; COMPUTE_PGM_RSRC2:TGID_X_EN: 1
; COMPUTE_PGM_RSRC2:TGID_Y_EN: 0
; COMPUTE_PGM_RSRC2:TGID_Z_EN: 0
; COMPUTE_PGM_RSRC2:TIDIG_COMP_CNT: 0
	.section	.text._ZN9rocsparseL23csr2csr_compress_kernelILi1024ELi128ELi8ELi32EfEEvii21rocsparse_index_base_PKT3_PKiS6_iS1_PS2_S6_PiNS_24const_host_device_scalarIS2_EEb,"axG",@progbits,_ZN9rocsparseL23csr2csr_compress_kernelILi1024ELi128ELi8ELi32EfEEvii21rocsparse_index_base_PKT3_PKiS6_iS1_PS2_S6_PiNS_24const_host_device_scalarIS2_EEb,comdat
	.globl	_ZN9rocsparseL23csr2csr_compress_kernelILi1024ELi128ELi8ELi32EfEEvii21rocsparse_index_base_PKT3_PKiS6_iS1_PS2_S6_PiNS_24const_host_device_scalarIS2_EEb ; -- Begin function _ZN9rocsparseL23csr2csr_compress_kernelILi1024ELi128ELi8ELi32EfEEvii21rocsparse_index_base_PKT3_PKiS6_iS1_PS2_S6_PiNS_24const_host_device_scalarIS2_EEb
	.p2align	8
	.type	_ZN9rocsparseL23csr2csr_compress_kernelILi1024ELi128ELi8ELi32EfEEvii21rocsparse_index_base_PKT3_PKiS6_iS1_PS2_S6_PiNS_24const_host_device_scalarIS2_EEb,@function
_ZN9rocsparseL23csr2csr_compress_kernelILi1024ELi128ELi8ELi32EfEEvii21rocsparse_index_base_PKT3_PKiS6_iS1_PS2_S6_PiNS_24const_host_device_scalarIS2_EEb: ; @_ZN9rocsparseL23csr2csr_compress_kernelILi1024ELi128ELi8ELi32EfEEvii21rocsparse_index_base_PKT3_PKiS6_iS1_PS2_S6_PiNS_24const_host_device_scalarIS2_EEb
; %bb.0:
	s_load_dword s0, s[4:5], 0x50
	s_load_dwordx2 s[2:3], s[4:5], 0x48
	s_waitcnt lgkmcnt(0)
	s_bitcmp1_b32 s0, 0
	s_cselect_b64 s[0:1], -1, 0
	s_and_b64 vcc, exec, s[0:1]
	s_cbranch_vccnz .LBB4_2
; %bb.1:
	s_load_dword s2, s[2:3], 0x0
.LBB4_2:
	s_nop 0
	s_load_dword s0, s[4:5], 0x0
	v_lshrrev_b32_e32 v1, 3, v0
	v_lshl_or_b32 v1, s6, 7, v1
	s_waitcnt lgkmcnt(0)
	v_cmp_gt_i32_e32 vcc, s0, v1
	s_and_saveexec_b64 s[0:1], vcc
	s_cbranch_execz .LBB4_8
; %bb.3:
	s_load_dwordx2 s[6:7], s[4:5], 0x18
	s_load_dword s0, s[4:5], 0x8
	v_ashrrev_i32_e32 v2, 31, v1
	v_lshlrev_b64 v[2:3], 2, v[1:2]
	s_waitcnt lgkmcnt(0)
	v_mov_b32_e32 v1, s7
	v_add_co_u32_e32 v4, vcc, s6, v2
	v_addc_co_u32_e32 v5, vcc, v1, v3, vcc
	global_load_dwordx2 v[5:6], v[4:5], off
	v_and_b32_e32 v4, 7, v0
	v_subrev_u32_e32 v1, s0, v4
	s_waitcnt vmcnt(0)
	v_subrev_u32_e32 v7, s0, v6
	v_add_u32_e32 v1, v5, v1
	v_cmp_lt_i32_e32 vcc, v1, v7
	s_and_b64 exec, exec, vcc
	s_cbranch_execz .LBB4_8
; %bb.4:
	s_load_dwordx4 s[8:11], s[4:5], 0x30
	s_load_dwordx2 s[6:7], s[4:5], 0x40
	v_and_b32_e32 v0, 24, v0
	s_waitcnt lgkmcnt(0)
	v_mov_b32_e32 v5, s11
	v_add_co_u32_e32 v2, vcc, s10, v2
	v_addc_co_u32_e32 v3, vcc, v5, v3, vcc
	global_load_dword v5, v[2:3], off
	s_load_dwordx2 s[10:11], s[4:5], 0x10
	s_load_dwordx2 s[12:13], s[4:5], 0x20
	s_load_dword s1, s[4:5], 0x2c
	v_not_b32_e32 v2, v4
	v_mov_b32_e32 v3, 0
	v_mbcnt_lo_u32_b32 v4, -1, 0
	v_lshrrev_b32_e64 v2, v2, -1
	v_mbcnt_hi_u32_b32 v6, -1, v4
	v_lshlrev_b64 v[3:4], v0, v[2:3]
	s_mov_b64 s[4:5], 0
	v_lshl_or_b32 v0, v6, 2, 28
	s_waitcnt lgkmcnt(0)
	s_sub_i32 s3, s1, s0
	v_mov_b32_e32 v8, s11
	s_mov_b32 s11, 0x800000
	s_waitcnt vmcnt(0)
	v_subrev_u32_e32 v9, s1, v5
	s_branch .LBB4_6
.LBB4_5:                                ;   in Loop: Header=BB4_6 Depth=1
	s_or_b64 exec, exec, s[0:1]
	ds_bpermute_b32 v2, v0, v10
	v_add_u32_e32 v1, 8, v1
	v_cmp_ge_i32_e32 vcc, v1, v7
	s_or_b64 s[4:5], vcc, s[4:5]
	s_waitcnt lgkmcnt(0)
	v_add_u32_e32 v9, v2, v9
	s_andn2_b64 exec, exec, s[4:5]
	s_cbranch_execz .LBB4_8
.LBB4_6:                                ; =>This Inner Loop Header: Depth=1
	v_ashrrev_i32_e32 v2, 31, v1
	v_lshlrev_b64 v[5:6], 2, v[1:2]
	v_add_co_u32_e32 v10, vcc, s10, v5
	v_addc_co_u32_e32 v11, vcc, v8, v6, vcc
	global_load_dword v2, v[10:11], off
	s_waitcnt vmcnt(0)
	v_cmp_gt_f32_e32 vcc, 0, v2
	v_cndmask_b32_e64 v10, v2, -v2, vcc
	v_cmp_lt_f32_e32 vcc, s2, v10
	v_cmp_lt_f32_e64 s[0:1], s11, v10
	s_and_b64 s[14:15], vcc, s[0:1]
	v_cndmask_b32_e64 v10, 0, 1, s[14:15]
	v_cmp_ne_u32_e32 vcc, 0, v10
	v_and_b32_e32 v11, vcc_lo, v3
	v_and_b32_e32 v10, vcc_hi, v4
	v_bcnt_u32_b32 v11, v11, 0
	v_bcnt_u32_b32 v10, v10, v11
	s_and_saveexec_b64 s[0:1], s[14:15]
	s_cbranch_execz .LBB4_5
; %bb.7:                                ;   in Loop: Header=BB4_6 Depth=1
	v_mov_b32_e32 v11, s13
	v_add_co_u32_e32 v5, vcc, s12, v5
	v_addc_co_u32_e32 v6, vcc, v11, v6, vcc
	global_load_dword v13, v[5:6], off
	v_ashrrev_i32_e32 v6, 31, v9
	v_add_co_u32_e32 v5, vcc, v9, v10
	v_addc_co_u32_e32 v6, vcc, 0, v6, vcc
	v_lshlrev_b64 v[5:6], 2, v[5:6]
	v_mov_b32_e32 v12, s9
	v_add_co_u32_e32 v11, vcc, s8, v5
	v_addc_co_u32_e32 v12, vcc, v12, v6, vcc
	v_mov_b32_e32 v14, s7
	v_add_co_u32_e32 v5, vcc, s6, v5
	global_store_dword v[11:12], v2, off offset:-4
	v_addc_co_u32_e32 v6, vcc, v14, v6, vcc
	s_waitcnt vmcnt(1)
	v_add_u32_e32 v2, s3, v13
	global_store_dword v[5:6], v2, off offset:-4
	s_branch .LBB4_5
.LBB4_8:
	s_endpgm
	.section	.rodata,"a",@progbits
	.p2align	6, 0x0
	.amdhsa_kernel _ZN9rocsparseL23csr2csr_compress_kernelILi1024ELi128ELi8ELi32EfEEvii21rocsparse_index_base_PKT3_PKiS6_iS1_PS2_S6_PiNS_24const_host_device_scalarIS2_EEb
		.amdhsa_group_segment_fixed_size 0
		.amdhsa_private_segment_fixed_size 0
		.amdhsa_kernarg_size 84
		.amdhsa_user_sgpr_count 6
		.amdhsa_user_sgpr_private_segment_buffer 1
		.amdhsa_user_sgpr_dispatch_ptr 0
		.amdhsa_user_sgpr_queue_ptr 0
		.amdhsa_user_sgpr_kernarg_segment_ptr 1
		.amdhsa_user_sgpr_dispatch_id 0
		.amdhsa_user_sgpr_flat_scratch_init 0
		.amdhsa_user_sgpr_private_segment_size 0
		.amdhsa_uses_dynamic_stack 0
		.amdhsa_system_sgpr_private_segment_wavefront_offset 0
		.amdhsa_system_sgpr_workgroup_id_x 1
		.amdhsa_system_sgpr_workgroup_id_y 0
		.amdhsa_system_sgpr_workgroup_id_z 0
		.amdhsa_system_sgpr_workgroup_info 0
		.amdhsa_system_vgpr_workitem_id 0
		.amdhsa_next_free_vgpr 15
		.amdhsa_next_free_sgpr 16
		.amdhsa_reserve_vcc 1
		.amdhsa_reserve_flat_scratch 0
		.amdhsa_float_round_mode_32 0
		.amdhsa_float_round_mode_16_64 0
		.amdhsa_float_denorm_mode_32 3
		.amdhsa_float_denorm_mode_16_64 3
		.amdhsa_dx10_clamp 1
		.amdhsa_ieee_mode 1
		.amdhsa_fp16_overflow 0
		.amdhsa_exception_fp_ieee_invalid_op 0
		.amdhsa_exception_fp_denorm_src 0
		.amdhsa_exception_fp_ieee_div_zero 0
		.amdhsa_exception_fp_ieee_overflow 0
		.amdhsa_exception_fp_ieee_underflow 0
		.amdhsa_exception_fp_ieee_inexact 0
		.amdhsa_exception_int_div_zero 0
	.end_amdhsa_kernel
	.section	.text._ZN9rocsparseL23csr2csr_compress_kernelILi1024ELi128ELi8ELi32EfEEvii21rocsparse_index_base_PKT3_PKiS6_iS1_PS2_S6_PiNS_24const_host_device_scalarIS2_EEb,"axG",@progbits,_ZN9rocsparseL23csr2csr_compress_kernelILi1024ELi128ELi8ELi32EfEEvii21rocsparse_index_base_PKT3_PKiS6_iS1_PS2_S6_PiNS_24const_host_device_scalarIS2_EEb,comdat
.Lfunc_end4:
	.size	_ZN9rocsparseL23csr2csr_compress_kernelILi1024ELi128ELi8ELi32EfEEvii21rocsparse_index_base_PKT3_PKiS6_iS1_PS2_S6_PiNS_24const_host_device_scalarIS2_EEb, .Lfunc_end4-_ZN9rocsparseL23csr2csr_compress_kernelILi1024ELi128ELi8ELi32EfEEvii21rocsparse_index_base_PKT3_PKiS6_iS1_PS2_S6_PiNS_24const_host_device_scalarIS2_EEb
                                        ; -- End function
	.set _ZN9rocsparseL23csr2csr_compress_kernelILi1024ELi128ELi8ELi32EfEEvii21rocsparse_index_base_PKT3_PKiS6_iS1_PS2_S6_PiNS_24const_host_device_scalarIS2_EEb.num_vgpr, 15
	.set _ZN9rocsparseL23csr2csr_compress_kernelILi1024ELi128ELi8ELi32EfEEvii21rocsparse_index_base_PKT3_PKiS6_iS1_PS2_S6_PiNS_24const_host_device_scalarIS2_EEb.num_agpr, 0
	.set _ZN9rocsparseL23csr2csr_compress_kernelILi1024ELi128ELi8ELi32EfEEvii21rocsparse_index_base_PKT3_PKiS6_iS1_PS2_S6_PiNS_24const_host_device_scalarIS2_EEb.numbered_sgpr, 16
	.set _ZN9rocsparseL23csr2csr_compress_kernelILi1024ELi128ELi8ELi32EfEEvii21rocsparse_index_base_PKT3_PKiS6_iS1_PS2_S6_PiNS_24const_host_device_scalarIS2_EEb.num_named_barrier, 0
	.set _ZN9rocsparseL23csr2csr_compress_kernelILi1024ELi128ELi8ELi32EfEEvii21rocsparse_index_base_PKT3_PKiS6_iS1_PS2_S6_PiNS_24const_host_device_scalarIS2_EEb.private_seg_size, 0
	.set _ZN9rocsparseL23csr2csr_compress_kernelILi1024ELi128ELi8ELi32EfEEvii21rocsparse_index_base_PKT3_PKiS6_iS1_PS2_S6_PiNS_24const_host_device_scalarIS2_EEb.uses_vcc, 1
	.set _ZN9rocsparseL23csr2csr_compress_kernelILi1024ELi128ELi8ELi32EfEEvii21rocsparse_index_base_PKT3_PKiS6_iS1_PS2_S6_PiNS_24const_host_device_scalarIS2_EEb.uses_flat_scratch, 0
	.set _ZN9rocsparseL23csr2csr_compress_kernelILi1024ELi128ELi8ELi32EfEEvii21rocsparse_index_base_PKT3_PKiS6_iS1_PS2_S6_PiNS_24const_host_device_scalarIS2_EEb.has_dyn_sized_stack, 0
	.set _ZN9rocsparseL23csr2csr_compress_kernelILi1024ELi128ELi8ELi32EfEEvii21rocsparse_index_base_PKT3_PKiS6_iS1_PS2_S6_PiNS_24const_host_device_scalarIS2_EEb.has_recursion, 0
	.set _ZN9rocsparseL23csr2csr_compress_kernelILi1024ELi128ELi8ELi32EfEEvii21rocsparse_index_base_PKT3_PKiS6_iS1_PS2_S6_PiNS_24const_host_device_scalarIS2_EEb.has_indirect_call, 0
	.section	.AMDGPU.csdata,"",@progbits
; Kernel info:
; codeLenInByte = 560
; TotalNumSgprs: 20
; NumVgprs: 15
; ScratchSize: 0
; MemoryBound: 0
; FloatMode: 240
; IeeeMode: 1
; LDSByteSize: 0 bytes/workgroup (compile time only)
; SGPRBlocks: 2
; VGPRBlocks: 3
; NumSGPRsForWavesPerEU: 20
; NumVGPRsForWavesPerEU: 15
; Occupancy: 10
; WaveLimiterHint : 0
; COMPUTE_PGM_RSRC2:SCRATCH_EN: 0
; COMPUTE_PGM_RSRC2:USER_SGPR: 6
; COMPUTE_PGM_RSRC2:TRAP_HANDLER: 0
; COMPUTE_PGM_RSRC2:TGID_X_EN: 1
; COMPUTE_PGM_RSRC2:TGID_Y_EN: 0
; COMPUTE_PGM_RSRC2:TGID_Z_EN: 0
; COMPUTE_PGM_RSRC2:TIDIG_COMP_CNT: 0
	.section	.text._ZN9rocsparseL23csr2csr_compress_kernelILi1024ELi64ELi16ELi32EfEEvii21rocsparse_index_base_PKT3_PKiS6_iS1_PS2_S6_PiNS_24const_host_device_scalarIS2_EEb,"axG",@progbits,_ZN9rocsparseL23csr2csr_compress_kernelILi1024ELi64ELi16ELi32EfEEvii21rocsparse_index_base_PKT3_PKiS6_iS1_PS2_S6_PiNS_24const_host_device_scalarIS2_EEb,comdat
	.globl	_ZN9rocsparseL23csr2csr_compress_kernelILi1024ELi64ELi16ELi32EfEEvii21rocsparse_index_base_PKT3_PKiS6_iS1_PS2_S6_PiNS_24const_host_device_scalarIS2_EEb ; -- Begin function _ZN9rocsparseL23csr2csr_compress_kernelILi1024ELi64ELi16ELi32EfEEvii21rocsparse_index_base_PKT3_PKiS6_iS1_PS2_S6_PiNS_24const_host_device_scalarIS2_EEb
	.p2align	8
	.type	_ZN9rocsparseL23csr2csr_compress_kernelILi1024ELi64ELi16ELi32EfEEvii21rocsparse_index_base_PKT3_PKiS6_iS1_PS2_S6_PiNS_24const_host_device_scalarIS2_EEb,@function
_ZN9rocsparseL23csr2csr_compress_kernelILi1024ELi64ELi16ELi32EfEEvii21rocsparse_index_base_PKT3_PKiS6_iS1_PS2_S6_PiNS_24const_host_device_scalarIS2_EEb: ; @_ZN9rocsparseL23csr2csr_compress_kernelILi1024ELi64ELi16ELi32EfEEvii21rocsparse_index_base_PKT3_PKiS6_iS1_PS2_S6_PiNS_24const_host_device_scalarIS2_EEb
; %bb.0:
	s_load_dword s0, s[4:5], 0x50
	s_load_dwordx2 s[2:3], s[4:5], 0x48
	s_waitcnt lgkmcnt(0)
	s_bitcmp1_b32 s0, 0
	s_cselect_b64 s[0:1], -1, 0
	s_and_b64 vcc, exec, s[0:1]
	s_cbranch_vccnz .LBB5_2
; %bb.1:
	s_load_dword s2, s[2:3], 0x0
.LBB5_2:
	s_nop 0
	s_load_dword s0, s[4:5], 0x0
	v_lshrrev_b32_e32 v1, 4, v0
	v_lshl_or_b32 v1, s6, 6, v1
	s_waitcnt lgkmcnt(0)
	v_cmp_gt_i32_e32 vcc, s0, v1
	s_and_saveexec_b64 s[0:1], vcc
	s_cbranch_execz .LBB5_8
; %bb.3:
	s_load_dwordx2 s[6:7], s[4:5], 0x18
	s_load_dword s0, s[4:5], 0x8
	v_ashrrev_i32_e32 v2, 31, v1
	v_lshlrev_b64 v[2:3], 2, v[1:2]
	s_waitcnt lgkmcnt(0)
	v_mov_b32_e32 v1, s7
	v_add_co_u32_e32 v4, vcc, s6, v2
	v_addc_co_u32_e32 v5, vcc, v1, v3, vcc
	global_load_dwordx2 v[5:6], v[4:5], off
	v_and_b32_e32 v4, 15, v0
	v_subrev_u32_e32 v1, s0, v4
	s_waitcnt vmcnt(0)
	v_subrev_u32_e32 v7, s0, v6
	v_add_u32_e32 v1, v5, v1
	v_cmp_lt_i32_e32 vcc, v1, v7
	s_and_b64 exec, exec, vcc
	s_cbranch_execz .LBB5_8
; %bb.4:
	s_load_dwordx4 s[8:11], s[4:5], 0x30
	s_load_dwordx2 s[6:7], s[4:5], 0x40
	v_and_b32_e32 v0, 16, v0
	s_waitcnt lgkmcnt(0)
	v_mov_b32_e32 v5, s11
	v_add_co_u32_e32 v2, vcc, s10, v2
	v_addc_co_u32_e32 v3, vcc, v5, v3, vcc
	global_load_dword v5, v[2:3], off
	s_load_dwordx2 s[10:11], s[4:5], 0x10
	s_load_dwordx2 s[12:13], s[4:5], 0x20
	s_load_dword s1, s[4:5], 0x2c
	v_not_b32_e32 v2, v4
	v_mov_b32_e32 v3, 0
	v_mbcnt_lo_u32_b32 v4, -1, 0
	v_lshrrev_b32_e64 v2, v2, -1
	v_mbcnt_hi_u32_b32 v6, -1, v4
	v_lshlrev_b64 v[3:4], v0, v[2:3]
	s_mov_b64 s[4:5], 0
	v_lshl_or_b32 v0, v6, 2, 60
	s_waitcnt lgkmcnt(0)
	s_sub_i32 s3, s1, s0
	v_mov_b32_e32 v8, s11
	s_mov_b32 s11, 0x800000
	s_waitcnt vmcnt(0)
	v_subrev_u32_e32 v9, s1, v5
	s_branch .LBB5_6
.LBB5_5:                                ;   in Loop: Header=BB5_6 Depth=1
	s_or_b64 exec, exec, s[0:1]
	ds_bpermute_b32 v2, v0, v10
	v_add_u32_e32 v1, 16, v1
	v_cmp_ge_i32_e32 vcc, v1, v7
	s_or_b64 s[4:5], vcc, s[4:5]
	s_waitcnt lgkmcnt(0)
	v_add_u32_e32 v9, v2, v9
	s_andn2_b64 exec, exec, s[4:5]
	s_cbranch_execz .LBB5_8
.LBB5_6:                                ; =>This Inner Loop Header: Depth=1
	v_ashrrev_i32_e32 v2, 31, v1
	v_lshlrev_b64 v[5:6], 2, v[1:2]
	v_add_co_u32_e32 v10, vcc, s10, v5
	v_addc_co_u32_e32 v11, vcc, v8, v6, vcc
	global_load_dword v2, v[10:11], off
	s_waitcnt vmcnt(0)
	v_cmp_gt_f32_e32 vcc, 0, v2
	v_cndmask_b32_e64 v10, v2, -v2, vcc
	v_cmp_lt_f32_e32 vcc, s2, v10
	v_cmp_lt_f32_e64 s[0:1], s11, v10
	s_and_b64 s[14:15], vcc, s[0:1]
	v_cndmask_b32_e64 v10, 0, 1, s[14:15]
	v_cmp_ne_u32_e32 vcc, 0, v10
	v_and_b32_e32 v11, vcc_lo, v3
	v_and_b32_e32 v10, vcc_hi, v4
	v_bcnt_u32_b32 v11, v11, 0
	v_bcnt_u32_b32 v10, v10, v11
	s_and_saveexec_b64 s[0:1], s[14:15]
	s_cbranch_execz .LBB5_5
; %bb.7:                                ;   in Loop: Header=BB5_6 Depth=1
	v_mov_b32_e32 v11, s13
	v_add_co_u32_e32 v5, vcc, s12, v5
	v_addc_co_u32_e32 v6, vcc, v11, v6, vcc
	global_load_dword v13, v[5:6], off
	v_ashrrev_i32_e32 v6, 31, v9
	v_add_co_u32_e32 v5, vcc, v9, v10
	v_addc_co_u32_e32 v6, vcc, 0, v6, vcc
	v_lshlrev_b64 v[5:6], 2, v[5:6]
	v_mov_b32_e32 v12, s9
	v_add_co_u32_e32 v11, vcc, s8, v5
	v_addc_co_u32_e32 v12, vcc, v12, v6, vcc
	v_mov_b32_e32 v14, s7
	v_add_co_u32_e32 v5, vcc, s6, v5
	global_store_dword v[11:12], v2, off offset:-4
	v_addc_co_u32_e32 v6, vcc, v14, v6, vcc
	s_waitcnt vmcnt(1)
	v_add_u32_e32 v2, s3, v13
	global_store_dword v[5:6], v2, off offset:-4
	s_branch .LBB5_5
.LBB5_8:
	s_endpgm
	.section	.rodata,"a",@progbits
	.p2align	6, 0x0
	.amdhsa_kernel _ZN9rocsparseL23csr2csr_compress_kernelILi1024ELi64ELi16ELi32EfEEvii21rocsparse_index_base_PKT3_PKiS6_iS1_PS2_S6_PiNS_24const_host_device_scalarIS2_EEb
		.amdhsa_group_segment_fixed_size 0
		.amdhsa_private_segment_fixed_size 0
		.amdhsa_kernarg_size 84
		.amdhsa_user_sgpr_count 6
		.amdhsa_user_sgpr_private_segment_buffer 1
		.amdhsa_user_sgpr_dispatch_ptr 0
		.amdhsa_user_sgpr_queue_ptr 0
		.amdhsa_user_sgpr_kernarg_segment_ptr 1
		.amdhsa_user_sgpr_dispatch_id 0
		.amdhsa_user_sgpr_flat_scratch_init 0
		.amdhsa_user_sgpr_private_segment_size 0
		.amdhsa_uses_dynamic_stack 0
		.amdhsa_system_sgpr_private_segment_wavefront_offset 0
		.amdhsa_system_sgpr_workgroup_id_x 1
		.amdhsa_system_sgpr_workgroup_id_y 0
		.amdhsa_system_sgpr_workgroup_id_z 0
		.amdhsa_system_sgpr_workgroup_info 0
		.amdhsa_system_vgpr_workitem_id 0
		.amdhsa_next_free_vgpr 15
		.amdhsa_next_free_sgpr 16
		.amdhsa_reserve_vcc 1
		.amdhsa_reserve_flat_scratch 0
		.amdhsa_float_round_mode_32 0
		.amdhsa_float_round_mode_16_64 0
		.amdhsa_float_denorm_mode_32 3
		.amdhsa_float_denorm_mode_16_64 3
		.amdhsa_dx10_clamp 1
		.amdhsa_ieee_mode 1
		.amdhsa_fp16_overflow 0
		.amdhsa_exception_fp_ieee_invalid_op 0
		.amdhsa_exception_fp_denorm_src 0
		.amdhsa_exception_fp_ieee_div_zero 0
		.amdhsa_exception_fp_ieee_overflow 0
		.amdhsa_exception_fp_ieee_underflow 0
		.amdhsa_exception_fp_ieee_inexact 0
		.amdhsa_exception_int_div_zero 0
	.end_amdhsa_kernel
	.section	.text._ZN9rocsparseL23csr2csr_compress_kernelILi1024ELi64ELi16ELi32EfEEvii21rocsparse_index_base_PKT3_PKiS6_iS1_PS2_S6_PiNS_24const_host_device_scalarIS2_EEb,"axG",@progbits,_ZN9rocsparseL23csr2csr_compress_kernelILi1024ELi64ELi16ELi32EfEEvii21rocsparse_index_base_PKT3_PKiS6_iS1_PS2_S6_PiNS_24const_host_device_scalarIS2_EEb,comdat
.Lfunc_end5:
	.size	_ZN9rocsparseL23csr2csr_compress_kernelILi1024ELi64ELi16ELi32EfEEvii21rocsparse_index_base_PKT3_PKiS6_iS1_PS2_S6_PiNS_24const_host_device_scalarIS2_EEb, .Lfunc_end5-_ZN9rocsparseL23csr2csr_compress_kernelILi1024ELi64ELi16ELi32EfEEvii21rocsparse_index_base_PKT3_PKiS6_iS1_PS2_S6_PiNS_24const_host_device_scalarIS2_EEb
                                        ; -- End function
	.set _ZN9rocsparseL23csr2csr_compress_kernelILi1024ELi64ELi16ELi32EfEEvii21rocsparse_index_base_PKT3_PKiS6_iS1_PS2_S6_PiNS_24const_host_device_scalarIS2_EEb.num_vgpr, 15
	.set _ZN9rocsparseL23csr2csr_compress_kernelILi1024ELi64ELi16ELi32EfEEvii21rocsparse_index_base_PKT3_PKiS6_iS1_PS2_S6_PiNS_24const_host_device_scalarIS2_EEb.num_agpr, 0
	.set _ZN9rocsparseL23csr2csr_compress_kernelILi1024ELi64ELi16ELi32EfEEvii21rocsparse_index_base_PKT3_PKiS6_iS1_PS2_S6_PiNS_24const_host_device_scalarIS2_EEb.numbered_sgpr, 16
	.set _ZN9rocsparseL23csr2csr_compress_kernelILi1024ELi64ELi16ELi32EfEEvii21rocsparse_index_base_PKT3_PKiS6_iS1_PS2_S6_PiNS_24const_host_device_scalarIS2_EEb.num_named_barrier, 0
	.set _ZN9rocsparseL23csr2csr_compress_kernelILi1024ELi64ELi16ELi32EfEEvii21rocsparse_index_base_PKT3_PKiS6_iS1_PS2_S6_PiNS_24const_host_device_scalarIS2_EEb.private_seg_size, 0
	.set _ZN9rocsparseL23csr2csr_compress_kernelILi1024ELi64ELi16ELi32EfEEvii21rocsparse_index_base_PKT3_PKiS6_iS1_PS2_S6_PiNS_24const_host_device_scalarIS2_EEb.uses_vcc, 1
	.set _ZN9rocsparseL23csr2csr_compress_kernelILi1024ELi64ELi16ELi32EfEEvii21rocsparse_index_base_PKT3_PKiS6_iS1_PS2_S6_PiNS_24const_host_device_scalarIS2_EEb.uses_flat_scratch, 0
	.set _ZN9rocsparseL23csr2csr_compress_kernelILi1024ELi64ELi16ELi32EfEEvii21rocsparse_index_base_PKT3_PKiS6_iS1_PS2_S6_PiNS_24const_host_device_scalarIS2_EEb.has_dyn_sized_stack, 0
	.set _ZN9rocsparseL23csr2csr_compress_kernelILi1024ELi64ELi16ELi32EfEEvii21rocsparse_index_base_PKT3_PKiS6_iS1_PS2_S6_PiNS_24const_host_device_scalarIS2_EEb.has_recursion, 0
	.set _ZN9rocsparseL23csr2csr_compress_kernelILi1024ELi64ELi16ELi32EfEEvii21rocsparse_index_base_PKT3_PKiS6_iS1_PS2_S6_PiNS_24const_host_device_scalarIS2_EEb.has_indirect_call, 0
	.section	.AMDGPU.csdata,"",@progbits
; Kernel info:
; codeLenInByte = 560
; TotalNumSgprs: 20
; NumVgprs: 15
; ScratchSize: 0
; MemoryBound: 0
; FloatMode: 240
; IeeeMode: 1
; LDSByteSize: 0 bytes/workgroup (compile time only)
; SGPRBlocks: 2
; VGPRBlocks: 3
; NumSGPRsForWavesPerEU: 20
; NumVGPRsForWavesPerEU: 15
; Occupancy: 10
; WaveLimiterHint : 0
; COMPUTE_PGM_RSRC2:SCRATCH_EN: 0
; COMPUTE_PGM_RSRC2:USER_SGPR: 6
; COMPUTE_PGM_RSRC2:TRAP_HANDLER: 0
; COMPUTE_PGM_RSRC2:TGID_X_EN: 1
; COMPUTE_PGM_RSRC2:TGID_Y_EN: 0
; COMPUTE_PGM_RSRC2:TGID_Z_EN: 0
; COMPUTE_PGM_RSRC2:TIDIG_COMP_CNT: 0
	.section	.text._ZN9rocsparseL23csr2csr_compress_kernelILi1024ELi32ELi32ELi32EfEEvii21rocsparse_index_base_PKT3_PKiS6_iS1_PS2_S6_PiNS_24const_host_device_scalarIS2_EEb,"axG",@progbits,_ZN9rocsparseL23csr2csr_compress_kernelILi1024ELi32ELi32ELi32EfEEvii21rocsparse_index_base_PKT3_PKiS6_iS1_PS2_S6_PiNS_24const_host_device_scalarIS2_EEb,comdat
	.globl	_ZN9rocsparseL23csr2csr_compress_kernelILi1024ELi32ELi32ELi32EfEEvii21rocsparse_index_base_PKT3_PKiS6_iS1_PS2_S6_PiNS_24const_host_device_scalarIS2_EEb ; -- Begin function _ZN9rocsparseL23csr2csr_compress_kernelILi1024ELi32ELi32ELi32EfEEvii21rocsparse_index_base_PKT3_PKiS6_iS1_PS2_S6_PiNS_24const_host_device_scalarIS2_EEb
	.p2align	8
	.type	_ZN9rocsparseL23csr2csr_compress_kernelILi1024ELi32ELi32ELi32EfEEvii21rocsparse_index_base_PKT3_PKiS6_iS1_PS2_S6_PiNS_24const_host_device_scalarIS2_EEb,@function
_ZN9rocsparseL23csr2csr_compress_kernelILi1024ELi32ELi32ELi32EfEEvii21rocsparse_index_base_PKT3_PKiS6_iS1_PS2_S6_PiNS_24const_host_device_scalarIS2_EEb: ; @_ZN9rocsparseL23csr2csr_compress_kernelILi1024ELi32ELi32ELi32EfEEvii21rocsparse_index_base_PKT3_PKiS6_iS1_PS2_S6_PiNS_24const_host_device_scalarIS2_EEb
; %bb.0:
	s_load_dword s0, s[4:5], 0x50
	s_load_dwordx2 s[2:3], s[4:5], 0x48
	s_waitcnt lgkmcnt(0)
	s_bitcmp1_b32 s0, 0
	s_cselect_b64 s[0:1], -1, 0
	s_and_b64 vcc, exec, s[0:1]
	s_cbranch_vccnz .LBB6_2
; %bb.1:
	s_load_dword s2, s[2:3], 0x0
.LBB6_2:
	s_nop 0
	s_load_dword s0, s[4:5], 0x0
	v_lshrrev_b32_e32 v1, 5, v0
	v_lshl_or_b32 v1, s6, 5, v1
	s_waitcnt lgkmcnt(0)
	v_cmp_gt_i32_e32 vcc, s0, v1
	s_and_saveexec_b64 s[0:1], vcc
	s_cbranch_execz .LBB6_8
; %bb.3:
	s_load_dwordx2 s[6:7], s[4:5], 0x18
	s_load_dword s0, s[4:5], 0x8
	v_ashrrev_i32_e32 v2, 31, v1
	v_lshlrev_b64 v[1:2], 2, v[1:2]
	s_waitcnt lgkmcnt(0)
	v_mov_b32_e32 v4, s7
	v_add_co_u32_e32 v3, vcc, s6, v1
	v_addc_co_u32_e32 v4, vcc, v4, v2, vcc
	global_load_dwordx2 v[5:6], v[3:4], off
	v_and_b32_e32 v4, 31, v0
	v_subrev_u32_e32 v0, s0, v4
	s_waitcnt vmcnt(0)
	v_subrev_u32_e32 v3, s0, v6
	v_add_u32_e32 v0, v5, v0
	v_cmp_lt_i32_e32 vcc, v0, v3
	s_and_b64 exec, exec, vcc
	s_cbranch_execz .LBB6_8
; %bb.4:
	s_load_dwordx4 s[8:11], s[4:5], 0x30
	s_load_dwordx2 s[6:7], s[4:5], 0x40
	v_mov_b32_e32 v6, 0x7c
	s_waitcnt lgkmcnt(0)
	v_mov_b32_e32 v5, s11
	v_add_co_u32_e32 v1, vcc, s10, v1
	v_addc_co_u32_e32 v2, vcc, v5, v2, vcc
	global_load_dword v1, v[1:2], off
	s_load_dwordx2 s[10:11], s[4:5], 0x10
	s_load_dwordx2 s[12:13], s[4:5], 0x20
	s_load_dword s1, s[4:5], 0x2c
	v_xor_b32_e32 v2, 31, v4
	v_mbcnt_lo_u32_b32 v5, -1, 0
	v_lshrrev_b32_e64 v4, v2, -1
	v_mbcnt_hi_u32_b32 v2, -1, v5
	s_mov_b64 s[4:5], 0
	v_lshl_or_b32 v5, v2, 2, v6
	s_waitcnt lgkmcnt(0)
	s_sub_i32 s3, s1, s0
	v_mov_b32_e32 v6, s11
	s_mov_b32 s11, 0x800000
	s_waitcnt vmcnt(0)
	v_subrev_u32_e32 v7, s1, v1
	s_branch .LBB6_6
.LBB6_5:                                ;   in Loop: Header=BB6_6 Depth=1
	s_or_b64 exec, exec, s[0:1]
	ds_bpermute_b32 v1, v5, v9
	v_add_u32_e32 v0, 32, v0
	v_cmp_ge_i32_e32 vcc, v0, v3
	s_or_b64 s[4:5], vcc, s[4:5]
	s_waitcnt lgkmcnt(0)
	v_add_u32_e32 v7, v1, v7
	s_andn2_b64 exec, exec, s[4:5]
	s_cbranch_execz .LBB6_8
.LBB6_6:                                ; =>This Inner Loop Header: Depth=1
	v_ashrrev_i32_e32 v1, 31, v0
	v_lshlrev_b64 v[1:2], 2, v[0:1]
	v_add_co_u32_e32 v8, vcc, s10, v1
	v_addc_co_u32_e32 v9, vcc, v6, v2, vcc
	global_load_dword v8, v[8:9], off
	s_waitcnt vmcnt(0)
	v_cmp_gt_f32_e32 vcc, 0, v8
	v_cndmask_b32_e64 v9, v8, -v8, vcc
	v_cmp_lt_f32_e32 vcc, s2, v9
	v_cmp_lt_f32_e64 s[0:1], s11, v9
	s_and_b64 s[14:15], vcc, s[0:1]
	v_cndmask_b32_e64 v9, 0, 1, s[14:15]
	v_cmp_ne_u32_e32 vcc, 0, v9
	v_and_b32_e32 v9, vcc_lo, v4
	v_bcnt_u32_b32 v9, v9, 0
	s_and_saveexec_b64 s[0:1], s[14:15]
	s_cbranch_execz .LBB6_5
; %bb.7:                                ;   in Loop: Header=BB6_6 Depth=1
	v_mov_b32_e32 v10, s13
	v_add_co_u32_e32 v1, vcc, s12, v1
	v_addc_co_u32_e32 v2, vcc, v10, v2, vcc
	global_load_dword v12, v[1:2], off
	v_ashrrev_i32_e32 v2, 31, v7
	v_add_co_u32_e32 v1, vcc, v7, v9
	v_addc_co_u32_e32 v2, vcc, 0, v2, vcc
	v_lshlrev_b64 v[1:2], 2, v[1:2]
	v_mov_b32_e32 v11, s9
	v_add_co_u32_e32 v10, vcc, s8, v1
	v_addc_co_u32_e32 v11, vcc, v11, v2, vcc
	v_mov_b32_e32 v13, s7
	v_add_co_u32_e32 v1, vcc, s6, v1
	global_store_dword v[10:11], v8, off offset:-4
	v_addc_co_u32_e32 v2, vcc, v13, v2, vcc
	s_waitcnt vmcnt(1)
	v_add_u32_e32 v8, s3, v12
	global_store_dword v[1:2], v8, off offset:-4
	s_branch .LBB6_5
.LBB6_8:
	s_endpgm
	.section	.rodata,"a",@progbits
	.p2align	6, 0x0
	.amdhsa_kernel _ZN9rocsparseL23csr2csr_compress_kernelILi1024ELi32ELi32ELi32EfEEvii21rocsparse_index_base_PKT3_PKiS6_iS1_PS2_S6_PiNS_24const_host_device_scalarIS2_EEb
		.amdhsa_group_segment_fixed_size 0
		.amdhsa_private_segment_fixed_size 0
		.amdhsa_kernarg_size 84
		.amdhsa_user_sgpr_count 6
		.amdhsa_user_sgpr_private_segment_buffer 1
		.amdhsa_user_sgpr_dispatch_ptr 0
		.amdhsa_user_sgpr_queue_ptr 0
		.amdhsa_user_sgpr_kernarg_segment_ptr 1
		.amdhsa_user_sgpr_dispatch_id 0
		.amdhsa_user_sgpr_flat_scratch_init 0
		.amdhsa_user_sgpr_private_segment_size 0
		.amdhsa_uses_dynamic_stack 0
		.amdhsa_system_sgpr_private_segment_wavefront_offset 0
		.amdhsa_system_sgpr_workgroup_id_x 1
		.amdhsa_system_sgpr_workgroup_id_y 0
		.amdhsa_system_sgpr_workgroup_id_z 0
		.amdhsa_system_sgpr_workgroup_info 0
		.amdhsa_system_vgpr_workitem_id 0
		.amdhsa_next_free_vgpr 14
		.amdhsa_next_free_sgpr 16
		.amdhsa_reserve_vcc 1
		.amdhsa_reserve_flat_scratch 0
		.amdhsa_float_round_mode_32 0
		.amdhsa_float_round_mode_16_64 0
		.amdhsa_float_denorm_mode_32 3
		.amdhsa_float_denorm_mode_16_64 3
		.amdhsa_dx10_clamp 1
		.amdhsa_ieee_mode 1
		.amdhsa_fp16_overflow 0
		.amdhsa_exception_fp_ieee_invalid_op 0
		.amdhsa_exception_fp_denorm_src 0
		.amdhsa_exception_fp_ieee_div_zero 0
		.amdhsa_exception_fp_ieee_overflow 0
		.amdhsa_exception_fp_ieee_underflow 0
		.amdhsa_exception_fp_ieee_inexact 0
		.amdhsa_exception_int_div_zero 0
	.end_amdhsa_kernel
	.section	.text._ZN9rocsparseL23csr2csr_compress_kernelILi1024ELi32ELi32ELi32EfEEvii21rocsparse_index_base_PKT3_PKiS6_iS1_PS2_S6_PiNS_24const_host_device_scalarIS2_EEb,"axG",@progbits,_ZN9rocsparseL23csr2csr_compress_kernelILi1024ELi32ELi32ELi32EfEEvii21rocsparse_index_base_PKT3_PKiS6_iS1_PS2_S6_PiNS_24const_host_device_scalarIS2_EEb,comdat
.Lfunc_end6:
	.size	_ZN9rocsparseL23csr2csr_compress_kernelILi1024ELi32ELi32ELi32EfEEvii21rocsparse_index_base_PKT3_PKiS6_iS1_PS2_S6_PiNS_24const_host_device_scalarIS2_EEb, .Lfunc_end6-_ZN9rocsparseL23csr2csr_compress_kernelILi1024ELi32ELi32ELi32EfEEvii21rocsparse_index_base_PKT3_PKiS6_iS1_PS2_S6_PiNS_24const_host_device_scalarIS2_EEb
                                        ; -- End function
	.set _ZN9rocsparseL23csr2csr_compress_kernelILi1024ELi32ELi32ELi32EfEEvii21rocsparse_index_base_PKT3_PKiS6_iS1_PS2_S6_PiNS_24const_host_device_scalarIS2_EEb.num_vgpr, 14
	.set _ZN9rocsparseL23csr2csr_compress_kernelILi1024ELi32ELi32ELi32EfEEvii21rocsparse_index_base_PKT3_PKiS6_iS1_PS2_S6_PiNS_24const_host_device_scalarIS2_EEb.num_agpr, 0
	.set _ZN9rocsparseL23csr2csr_compress_kernelILi1024ELi32ELi32ELi32EfEEvii21rocsparse_index_base_PKT3_PKiS6_iS1_PS2_S6_PiNS_24const_host_device_scalarIS2_EEb.numbered_sgpr, 16
	.set _ZN9rocsparseL23csr2csr_compress_kernelILi1024ELi32ELi32ELi32EfEEvii21rocsparse_index_base_PKT3_PKiS6_iS1_PS2_S6_PiNS_24const_host_device_scalarIS2_EEb.num_named_barrier, 0
	.set _ZN9rocsparseL23csr2csr_compress_kernelILi1024ELi32ELi32ELi32EfEEvii21rocsparse_index_base_PKT3_PKiS6_iS1_PS2_S6_PiNS_24const_host_device_scalarIS2_EEb.private_seg_size, 0
	.set _ZN9rocsparseL23csr2csr_compress_kernelILi1024ELi32ELi32ELi32EfEEvii21rocsparse_index_base_PKT3_PKiS6_iS1_PS2_S6_PiNS_24const_host_device_scalarIS2_EEb.uses_vcc, 1
	.set _ZN9rocsparseL23csr2csr_compress_kernelILi1024ELi32ELi32ELi32EfEEvii21rocsparse_index_base_PKT3_PKiS6_iS1_PS2_S6_PiNS_24const_host_device_scalarIS2_EEb.uses_flat_scratch, 0
	.set _ZN9rocsparseL23csr2csr_compress_kernelILi1024ELi32ELi32ELi32EfEEvii21rocsparse_index_base_PKT3_PKiS6_iS1_PS2_S6_PiNS_24const_host_device_scalarIS2_EEb.has_dyn_sized_stack, 0
	.set _ZN9rocsparseL23csr2csr_compress_kernelILi1024ELi32ELi32ELi32EfEEvii21rocsparse_index_base_PKT3_PKiS6_iS1_PS2_S6_PiNS_24const_host_device_scalarIS2_EEb.has_recursion, 0
	.set _ZN9rocsparseL23csr2csr_compress_kernelILi1024ELi32ELi32ELi32EfEEvii21rocsparse_index_base_PKT3_PKiS6_iS1_PS2_S6_PiNS_24const_host_device_scalarIS2_EEb.has_indirect_call, 0
	.section	.AMDGPU.csdata,"",@progbits
; Kernel info:
; codeLenInByte = 540
; TotalNumSgprs: 20
; NumVgprs: 14
; ScratchSize: 0
; MemoryBound: 0
; FloatMode: 240
; IeeeMode: 1
; LDSByteSize: 0 bytes/workgroup (compile time only)
; SGPRBlocks: 2
; VGPRBlocks: 3
; NumSGPRsForWavesPerEU: 20
; NumVGPRsForWavesPerEU: 14
; Occupancy: 10
; WaveLimiterHint : 0
; COMPUTE_PGM_RSRC2:SCRATCH_EN: 0
; COMPUTE_PGM_RSRC2:USER_SGPR: 6
; COMPUTE_PGM_RSRC2:TRAP_HANDLER: 0
; COMPUTE_PGM_RSRC2:TGID_X_EN: 1
; COMPUTE_PGM_RSRC2:TGID_Y_EN: 0
; COMPUTE_PGM_RSRC2:TGID_Z_EN: 0
; COMPUTE_PGM_RSRC2:TIDIG_COMP_CNT: 0
	.section	.text._ZN9rocsparseL23csr2csr_compress_kernelILi1024ELi512ELi2ELi64EfEEvii21rocsparse_index_base_PKT3_PKiS6_iS1_PS2_S6_PiNS_24const_host_device_scalarIS2_EEb,"axG",@progbits,_ZN9rocsparseL23csr2csr_compress_kernelILi1024ELi512ELi2ELi64EfEEvii21rocsparse_index_base_PKT3_PKiS6_iS1_PS2_S6_PiNS_24const_host_device_scalarIS2_EEb,comdat
	.globl	_ZN9rocsparseL23csr2csr_compress_kernelILi1024ELi512ELi2ELi64EfEEvii21rocsparse_index_base_PKT3_PKiS6_iS1_PS2_S6_PiNS_24const_host_device_scalarIS2_EEb ; -- Begin function _ZN9rocsparseL23csr2csr_compress_kernelILi1024ELi512ELi2ELi64EfEEvii21rocsparse_index_base_PKT3_PKiS6_iS1_PS2_S6_PiNS_24const_host_device_scalarIS2_EEb
	.p2align	8
	.type	_ZN9rocsparseL23csr2csr_compress_kernelILi1024ELi512ELi2ELi64EfEEvii21rocsparse_index_base_PKT3_PKiS6_iS1_PS2_S6_PiNS_24const_host_device_scalarIS2_EEb,@function
_ZN9rocsparseL23csr2csr_compress_kernelILi1024ELi512ELi2ELi64EfEEvii21rocsparse_index_base_PKT3_PKiS6_iS1_PS2_S6_PiNS_24const_host_device_scalarIS2_EEb: ; @_ZN9rocsparseL23csr2csr_compress_kernelILi1024ELi512ELi2ELi64EfEEvii21rocsparse_index_base_PKT3_PKiS6_iS1_PS2_S6_PiNS_24const_host_device_scalarIS2_EEb
; %bb.0:
	s_load_dword s0, s[4:5], 0x50
	s_load_dwordx2 s[2:3], s[4:5], 0x48
	s_waitcnt lgkmcnt(0)
	s_bitcmp1_b32 s0, 0
	s_cselect_b64 s[0:1], -1, 0
	s_and_b64 vcc, exec, s[0:1]
	s_cbranch_vccnz .LBB7_2
; %bb.1:
	s_load_dword s2, s[2:3], 0x0
.LBB7_2:
	s_nop 0
	s_load_dword s0, s[4:5], 0x0
	v_lshrrev_b32_e32 v1, 1, v0
	v_lshl_or_b32 v1, s6, 9, v1
	s_waitcnt lgkmcnt(0)
	v_cmp_gt_i32_e32 vcc, s0, v1
	s_and_saveexec_b64 s[0:1], vcc
	s_cbranch_execz .LBB7_8
; %bb.3:
	s_load_dwordx2 s[6:7], s[4:5], 0x18
	s_load_dword s0, s[4:5], 0x8
	v_ashrrev_i32_e32 v2, 31, v1
	v_lshlrev_b64 v[2:3], 2, v[1:2]
	s_waitcnt lgkmcnt(0)
	v_mov_b32_e32 v1, s7
	v_add_co_u32_e32 v4, vcc, s6, v2
	v_addc_co_u32_e32 v5, vcc, v1, v3, vcc
	global_load_dwordx2 v[5:6], v[4:5], off
	v_and_b32_e32 v4, 1, v0
	v_subrev_u32_e32 v1, s0, v4
	s_waitcnt vmcnt(0)
	v_subrev_u32_e32 v7, s0, v6
	v_add_u32_e32 v1, v5, v1
	v_cmp_lt_i32_e32 vcc, v1, v7
	s_and_b64 exec, exec, vcc
	s_cbranch_execz .LBB7_8
; %bb.4:
	s_load_dwordx4 s[8:11], s[4:5], 0x30
	s_load_dwordx2 s[6:7], s[4:5], 0x40
	v_and_b32_e32 v0, 62, v0
	s_waitcnt lgkmcnt(0)
	v_mov_b32_e32 v5, s11
	v_add_co_u32_e32 v2, vcc, s10, v2
	v_addc_co_u32_e32 v3, vcc, v5, v3, vcc
	global_load_dword v5, v[2:3], off
	s_load_dwordx2 s[10:11], s[4:5], 0x10
	s_load_dwordx2 s[12:13], s[4:5], 0x20
	s_load_dword s1, s[4:5], 0x2c
	v_not_b32_e32 v2, v4
	v_mov_b32_e32 v3, 0
	v_mbcnt_lo_u32_b32 v4, -1, 0
	v_lshrrev_b32_e64 v2, v2, -1
	v_mbcnt_hi_u32_b32 v6, -1, v4
	v_lshlrev_b64 v[3:4], v0, v[2:3]
	s_mov_b64 s[4:5], 0
	v_lshl_or_b32 v0, v6, 2, 4
	s_waitcnt lgkmcnt(0)
	s_sub_i32 s3, s1, s0
	v_mov_b32_e32 v8, s11
	s_mov_b32 s11, 0x800000
	s_waitcnt vmcnt(0)
	v_subrev_u32_e32 v9, s1, v5
	s_branch .LBB7_6
.LBB7_5:                                ;   in Loop: Header=BB7_6 Depth=1
	s_or_b64 exec, exec, s[0:1]
	ds_bpermute_b32 v2, v0, v10
	v_add_u32_e32 v1, 2, v1
	v_cmp_ge_i32_e32 vcc, v1, v7
	s_or_b64 s[4:5], vcc, s[4:5]
	s_waitcnt lgkmcnt(0)
	v_add_u32_e32 v9, v2, v9
	s_andn2_b64 exec, exec, s[4:5]
	s_cbranch_execz .LBB7_8
.LBB7_6:                                ; =>This Inner Loop Header: Depth=1
	v_ashrrev_i32_e32 v2, 31, v1
	v_lshlrev_b64 v[5:6], 2, v[1:2]
	v_add_co_u32_e32 v10, vcc, s10, v5
	v_addc_co_u32_e32 v11, vcc, v8, v6, vcc
	global_load_dword v2, v[10:11], off
	s_waitcnt vmcnt(0)
	v_cmp_gt_f32_e32 vcc, 0, v2
	v_cndmask_b32_e64 v10, v2, -v2, vcc
	v_cmp_lt_f32_e32 vcc, s2, v10
	v_cmp_lt_f32_e64 s[0:1], s11, v10
	s_and_b64 s[14:15], vcc, s[0:1]
	v_cndmask_b32_e64 v10, 0, 1, s[14:15]
	v_cmp_ne_u32_e32 vcc, 0, v10
	v_and_b32_e32 v11, vcc_lo, v3
	v_and_b32_e32 v10, vcc_hi, v4
	v_bcnt_u32_b32 v11, v11, 0
	v_bcnt_u32_b32 v10, v10, v11
	s_and_saveexec_b64 s[0:1], s[14:15]
	s_cbranch_execz .LBB7_5
; %bb.7:                                ;   in Loop: Header=BB7_6 Depth=1
	v_mov_b32_e32 v11, s13
	v_add_co_u32_e32 v5, vcc, s12, v5
	v_addc_co_u32_e32 v6, vcc, v11, v6, vcc
	global_load_dword v13, v[5:6], off
	v_ashrrev_i32_e32 v6, 31, v9
	v_add_co_u32_e32 v5, vcc, v9, v10
	v_addc_co_u32_e32 v6, vcc, 0, v6, vcc
	v_lshlrev_b64 v[5:6], 2, v[5:6]
	v_mov_b32_e32 v12, s9
	v_add_co_u32_e32 v11, vcc, s8, v5
	v_addc_co_u32_e32 v12, vcc, v12, v6, vcc
	v_mov_b32_e32 v14, s7
	v_add_co_u32_e32 v5, vcc, s6, v5
	global_store_dword v[11:12], v2, off offset:-4
	v_addc_co_u32_e32 v6, vcc, v14, v6, vcc
	s_waitcnt vmcnt(1)
	v_add_u32_e32 v2, s3, v13
	global_store_dword v[5:6], v2, off offset:-4
	s_branch .LBB7_5
.LBB7_8:
	s_endpgm
	.section	.rodata,"a",@progbits
	.p2align	6, 0x0
	.amdhsa_kernel _ZN9rocsparseL23csr2csr_compress_kernelILi1024ELi512ELi2ELi64EfEEvii21rocsparse_index_base_PKT3_PKiS6_iS1_PS2_S6_PiNS_24const_host_device_scalarIS2_EEb
		.amdhsa_group_segment_fixed_size 0
		.amdhsa_private_segment_fixed_size 0
		.amdhsa_kernarg_size 84
		.amdhsa_user_sgpr_count 6
		.amdhsa_user_sgpr_private_segment_buffer 1
		.amdhsa_user_sgpr_dispatch_ptr 0
		.amdhsa_user_sgpr_queue_ptr 0
		.amdhsa_user_sgpr_kernarg_segment_ptr 1
		.amdhsa_user_sgpr_dispatch_id 0
		.amdhsa_user_sgpr_flat_scratch_init 0
		.amdhsa_user_sgpr_private_segment_size 0
		.amdhsa_uses_dynamic_stack 0
		.amdhsa_system_sgpr_private_segment_wavefront_offset 0
		.amdhsa_system_sgpr_workgroup_id_x 1
		.amdhsa_system_sgpr_workgroup_id_y 0
		.amdhsa_system_sgpr_workgroup_id_z 0
		.amdhsa_system_sgpr_workgroup_info 0
		.amdhsa_system_vgpr_workitem_id 0
		.amdhsa_next_free_vgpr 15
		.amdhsa_next_free_sgpr 16
		.amdhsa_reserve_vcc 1
		.amdhsa_reserve_flat_scratch 0
		.amdhsa_float_round_mode_32 0
		.amdhsa_float_round_mode_16_64 0
		.amdhsa_float_denorm_mode_32 3
		.amdhsa_float_denorm_mode_16_64 3
		.amdhsa_dx10_clamp 1
		.amdhsa_ieee_mode 1
		.amdhsa_fp16_overflow 0
		.amdhsa_exception_fp_ieee_invalid_op 0
		.amdhsa_exception_fp_denorm_src 0
		.amdhsa_exception_fp_ieee_div_zero 0
		.amdhsa_exception_fp_ieee_overflow 0
		.amdhsa_exception_fp_ieee_underflow 0
		.amdhsa_exception_fp_ieee_inexact 0
		.amdhsa_exception_int_div_zero 0
	.end_amdhsa_kernel
	.section	.text._ZN9rocsparseL23csr2csr_compress_kernelILi1024ELi512ELi2ELi64EfEEvii21rocsparse_index_base_PKT3_PKiS6_iS1_PS2_S6_PiNS_24const_host_device_scalarIS2_EEb,"axG",@progbits,_ZN9rocsparseL23csr2csr_compress_kernelILi1024ELi512ELi2ELi64EfEEvii21rocsparse_index_base_PKT3_PKiS6_iS1_PS2_S6_PiNS_24const_host_device_scalarIS2_EEb,comdat
.Lfunc_end7:
	.size	_ZN9rocsparseL23csr2csr_compress_kernelILi1024ELi512ELi2ELi64EfEEvii21rocsparse_index_base_PKT3_PKiS6_iS1_PS2_S6_PiNS_24const_host_device_scalarIS2_EEb, .Lfunc_end7-_ZN9rocsparseL23csr2csr_compress_kernelILi1024ELi512ELi2ELi64EfEEvii21rocsparse_index_base_PKT3_PKiS6_iS1_PS2_S6_PiNS_24const_host_device_scalarIS2_EEb
                                        ; -- End function
	.set _ZN9rocsparseL23csr2csr_compress_kernelILi1024ELi512ELi2ELi64EfEEvii21rocsparse_index_base_PKT3_PKiS6_iS1_PS2_S6_PiNS_24const_host_device_scalarIS2_EEb.num_vgpr, 15
	.set _ZN9rocsparseL23csr2csr_compress_kernelILi1024ELi512ELi2ELi64EfEEvii21rocsparse_index_base_PKT3_PKiS6_iS1_PS2_S6_PiNS_24const_host_device_scalarIS2_EEb.num_agpr, 0
	.set _ZN9rocsparseL23csr2csr_compress_kernelILi1024ELi512ELi2ELi64EfEEvii21rocsparse_index_base_PKT3_PKiS6_iS1_PS2_S6_PiNS_24const_host_device_scalarIS2_EEb.numbered_sgpr, 16
	.set _ZN9rocsparseL23csr2csr_compress_kernelILi1024ELi512ELi2ELi64EfEEvii21rocsparse_index_base_PKT3_PKiS6_iS1_PS2_S6_PiNS_24const_host_device_scalarIS2_EEb.num_named_barrier, 0
	.set _ZN9rocsparseL23csr2csr_compress_kernelILi1024ELi512ELi2ELi64EfEEvii21rocsparse_index_base_PKT3_PKiS6_iS1_PS2_S6_PiNS_24const_host_device_scalarIS2_EEb.private_seg_size, 0
	.set _ZN9rocsparseL23csr2csr_compress_kernelILi1024ELi512ELi2ELi64EfEEvii21rocsparse_index_base_PKT3_PKiS6_iS1_PS2_S6_PiNS_24const_host_device_scalarIS2_EEb.uses_vcc, 1
	.set _ZN9rocsparseL23csr2csr_compress_kernelILi1024ELi512ELi2ELi64EfEEvii21rocsparse_index_base_PKT3_PKiS6_iS1_PS2_S6_PiNS_24const_host_device_scalarIS2_EEb.uses_flat_scratch, 0
	.set _ZN9rocsparseL23csr2csr_compress_kernelILi1024ELi512ELi2ELi64EfEEvii21rocsparse_index_base_PKT3_PKiS6_iS1_PS2_S6_PiNS_24const_host_device_scalarIS2_EEb.has_dyn_sized_stack, 0
	.set _ZN9rocsparseL23csr2csr_compress_kernelILi1024ELi512ELi2ELi64EfEEvii21rocsparse_index_base_PKT3_PKiS6_iS1_PS2_S6_PiNS_24const_host_device_scalarIS2_EEb.has_recursion, 0
	.set _ZN9rocsparseL23csr2csr_compress_kernelILi1024ELi512ELi2ELi64EfEEvii21rocsparse_index_base_PKT3_PKiS6_iS1_PS2_S6_PiNS_24const_host_device_scalarIS2_EEb.has_indirect_call, 0
	.section	.AMDGPU.csdata,"",@progbits
; Kernel info:
; codeLenInByte = 560
; TotalNumSgprs: 20
; NumVgprs: 15
; ScratchSize: 0
; MemoryBound: 0
; FloatMode: 240
; IeeeMode: 1
; LDSByteSize: 0 bytes/workgroup (compile time only)
; SGPRBlocks: 2
; VGPRBlocks: 3
; NumSGPRsForWavesPerEU: 20
; NumVGPRsForWavesPerEU: 15
; Occupancy: 10
; WaveLimiterHint : 0
; COMPUTE_PGM_RSRC2:SCRATCH_EN: 0
; COMPUTE_PGM_RSRC2:USER_SGPR: 6
; COMPUTE_PGM_RSRC2:TRAP_HANDLER: 0
; COMPUTE_PGM_RSRC2:TGID_X_EN: 1
; COMPUTE_PGM_RSRC2:TGID_Y_EN: 0
; COMPUTE_PGM_RSRC2:TGID_Z_EN: 0
; COMPUTE_PGM_RSRC2:TIDIG_COMP_CNT: 0
	.section	.text._ZN9rocsparseL23csr2csr_compress_kernelILi1024ELi256ELi4ELi64EfEEvii21rocsparse_index_base_PKT3_PKiS6_iS1_PS2_S6_PiNS_24const_host_device_scalarIS2_EEb,"axG",@progbits,_ZN9rocsparseL23csr2csr_compress_kernelILi1024ELi256ELi4ELi64EfEEvii21rocsparse_index_base_PKT3_PKiS6_iS1_PS2_S6_PiNS_24const_host_device_scalarIS2_EEb,comdat
	.globl	_ZN9rocsparseL23csr2csr_compress_kernelILi1024ELi256ELi4ELi64EfEEvii21rocsparse_index_base_PKT3_PKiS6_iS1_PS2_S6_PiNS_24const_host_device_scalarIS2_EEb ; -- Begin function _ZN9rocsparseL23csr2csr_compress_kernelILi1024ELi256ELi4ELi64EfEEvii21rocsparse_index_base_PKT3_PKiS6_iS1_PS2_S6_PiNS_24const_host_device_scalarIS2_EEb
	.p2align	8
	.type	_ZN9rocsparseL23csr2csr_compress_kernelILi1024ELi256ELi4ELi64EfEEvii21rocsparse_index_base_PKT3_PKiS6_iS1_PS2_S6_PiNS_24const_host_device_scalarIS2_EEb,@function
_ZN9rocsparseL23csr2csr_compress_kernelILi1024ELi256ELi4ELi64EfEEvii21rocsparse_index_base_PKT3_PKiS6_iS1_PS2_S6_PiNS_24const_host_device_scalarIS2_EEb: ; @_ZN9rocsparseL23csr2csr_compress_kernelILi1024ELi256ELi4ELi64EfEEvii21rocsparse_index_base_PKT3_PKiS6_iS1_PS2_S6_PiNS_24const_host_device_scalarIS2_EEb
; %bb.0:
	s_load_dword s0, s[4:5], 0x50
	s_load_dwordx2 s[2:3], s[4:5], 0x48
	s_waitcnt lgkmcnt(0)
	s_bitcmp1_b32 s0, 0
	s_cselect_b64 s[0:1], -1, 0
	s_and_b64 vcc, exec, s[0:1]
	s_cbranch_vccnz .LBB8_2
; %bb.1:
	s_load_dword s2, s[2:3], 0x0
.LBB8_2:
	s_nop 0
	s_load_dword s0, s[4:5], 0x0
	v_lshrrev_b32_e32 v1, 2, v0
	v_lshl_or_b32 v1, s6, 8, v1
	s_waitcnt lgkmcnt(0)
	v_cmp_gt_i32_e32 vcc, s0, v1
	s_and_saveexec_b64 s[0:1], vcc
	s_cbranch_execz .LBB8_8
; %bb.3:
	s_load_dwordx2 s[6:7], s[4:5], 0x18
	s_load_dword s0, s[4:5], 0x8
	v_ashrrev_i32_e32 v2, 31, v1
	v_lshlrev_b64 v[2:3], 2, v[1:2]
	s_waitcnt lgkmcnt(0)
	v_mov_b32_e32 v1, s7
	v_add_co_u32_e32 v4, vcc, s6, v2
	v_addc_co_u32_e32 v5, vcc, v1, v3, vcc
	global_load_dwordx2 v[5:6], v[4:5], off
	v_and_b32_e32 v4, 3, v0
	v_subrev_u32_e32 v1, s0, v4
	s_waitcnt vmcnt(0)
	v_subrev_u32_e32 v7, s0, v6
	v_add_u32_e32 v1, v5, v1
	v_cmp_lt_i32_e32 vcc, v1, v7
	s_and_b64 exec, exec, vcc
	s_cbranch_execz .LBB8_8
; %bb.4:
	s_load_dwordx4 s[8:11], s[4:5], 0x30
	s_load_dwordx2 s[6:7], s[4:5], 0x40
	v_and_b32_e32 v0, 60, v0
	s_waitcnt lgkmcnt(0)
	v_mov_b32_e32 v5, s11
	v_add_co_u32_e32 v2, vcc, s10, v2
	v_addc_co_u32_e32 v3, vcc, v5, v3, vcc
	global_load_dword v5, v[2:3], off
	s_load_dwordx2 s[10:11], s[4:5], 0x10
	s_load_dwordx2 s[12:13], s[4:5], 0x20
	s_load_dword s1, s[4:5], 0x2c
	v_not_b32_e32 v2, v4
	v_mov_b32_e32 v3, 0
	v_mbcnt_lo_u32_b32 v4, -1, 0
	v_lshrrev_b32_e64 v2, v2, -1
	v_mbcnt_hi_u32_b32 v6, -1, v4
	v_lshlrev_b64 v[3:4], v0, v[2:3]
	s_mov_b64 s[4:5], 0
	v_lshl_or_b32 v0, v6, 2, 12
	s_waitcnt lgkmcnt(0)
	s_sub_i32 s3, s1, s0
	v_mov_b32_e32 v8, s11
	s_mov_b32 s11, 0x800000
	s_waitcnt vmcnt(0)
	v_subrev_u32_e32 v9, s1, v5
	s_branch .LBB8_6
.LBB8_5:                                ;   in Loop: Header=BB8_6 Depth=1
	s_or_b64 exec, exec, s[0:1]
	ds_bpermute_b32 v2, v0, v10
	v_add_u32_e32 v1, 4, v1
	v_cmp_ge_i32_e32 vcc, v1, v7
	s_or_b64 s[4:5], vcc, s[4:5]
	s_waitcnt lgkmcnt(0)
	v_add_u32_e32 v9, v2, v9
	s_andn2_b64 exec, exec, s[4:5]
	s_cbranch_execz .LBB8_8
.LBB8_6:                                ; =>This Inner Loop Header: Depth=1
	v_ashrrev_i32_e32 v2, 31, v1
	v_lshlrev_b64 v[5:6], 2, v[1:2]
	v_add_co_u32_e32 v10, vcc, s10, v5
	v_addc_co_u32_e32 v11, vcc, v8, v6, vcc
	global_load_dword v2, v[10:11], off
	s_waitcnt vmcnt(0)
	v_cmp_gt_f32_e32 vcc, 0, v2
	v_cndmask_b32_e64 v10, v2, -v2, vcc
	v_cmp_lt_f32_e32 vcc, s2, v10
	v_cmp_lt_f32_e64 s[0:1], s11, v10
	s_and_b64 s[14:15], vcc, s[0:1]
	v_cndmask_b32_e64 v10, 0, 1, s[14:15]
	v_cmp_ne_u32_e32 vcc, 0, v10
	v_and_b32_e32 v11, vcc_lo, v3
	v_and_b32_e32 v10, vcc_hi, v4
	v_bcnt_u32_b32 v11, v11, 0
	v_bcnt_u32_b32 v10, v10, v11
	s_and_saveexec_b64 s[0:1], s[14:15]
	s_cbranch_execz .LBB8_5
; %bb.7:                                ;   in Loop: Header=BB8_6 Depth=1
	v_mov_b32_e32 v11, s13
	v_add_co_u32_e32 v5, vcc, s12, v5
	v_addc_co_u32_e32 v6, vcc, v11, v6, vcc
	global_load_dword v13, v[5:6], off
	v_ashrrev_i32_e32 v6, 31, v9
	v_add_co_u32_e32 v5, vcc, v9, v10
	v_addc_co_u32_e32 v6, vcc, 0, v6, vcc
	v_lshlrev_b64 v[5:6], 2, v[5:6]
	v_mov_b32_e32 v12, s9
	v_add_co_u32_e32 v11, vcc, s8, v5
	v_addc_co_u32_e32 v12, vcc, v12, v6, vcc
	v_mov_b32_e32 v14, s7
	v_add_co_u32_e32 v5, vcc, s6, v5
	global_store_dword v[11:12], v2, off offset:-4
	v_addc_co_u32_e32 v6, vcc, v14, v6, vcc
	s_waitcnt vmcnt(1)
	v_add_u32_e32 v2, s3, v13
	global_store_dword v[5:6], v2, off offset:-4
	s_branch .LBB8_5
.LBB8_8:
	s_endpgm
	.section	.rodata,"a",@progbits
	.p2align	6, 0x0
	.amdhsa_kernel _ZN9rocsparseL23csr2csr_compress_kernelILi1024ELi256ELi4ELi64EfEEvii21rocsparse_index_base_PKT3_PKiS6_iS1_PS2_S6_PiNS_24const_host_device_scalarIS2_EEb
		.amdhsa_group_segment_fixed_size 0
		.amdhsa_private_segment_fixed_size 0
		.amdhsa_kernarg_size 84
		.amdhsa_user_sgpr_count 6
		.amdhsa_user_sgpr_private_segment_buffer 1
		.amdhsa_user_sgpr_dispatch_ptr 0
		.amdhsa_user_sgpr_queue_ptr 0
		.amdhsa_user_sgpr_kernarg_segment_ptr 1
		.amdhsa_user_sgpr_dispatch_id 0
		.amdhsa_user_sgpr_flat_scratch_init 0
		.amdhsa_user_sgpr_private_segment_size 0
		.amdhsa_uses_dynamic_stack 0
		.amdhsa_system_sgpr_private_segment_wavefront_offset 0
		.amdhsa_system_sgpr_workgroup_id_x 1
		.amdhsa_system_sgpr_workgroup_id_y 0
		.amdhsa_system_sgpr_workgroup_id_z 0
		.amdhsa_system_sgpr_workgroup_info 0
		.amdhsa_system_vgpr_workitem_id 0
		.amdhsa_next_free_vgpr 15
		.amdhsa_next_free_sgpr 16
		.amdhsa_reserve_vcc 1
		.amdhsa_reserve_flat_scratch 0
		.amdhsa_float_round_mode_32 0
		.amdhsa_float_round_mode_16_64 0
		.amdhsa_float_denorm_mode_32 3
		.amdhsa_float_denorm_mode_16_64 3
		.amdhsa_dx10_clamp 1
		.amdhsa_ieee_mode 1
		.amdhsa_fp16_overflow 0
		.amdhsa_exception_fp_ieee_invalid_op 0
		.amdhsa_exception_fp_denorm_src 0
		.amdhsa_exception_fp_ieee_div_zero 0
		.amdhsa_exception_fp_ieee_overflow 0
		.amdhsa_exception_fp_ieee_underflow 0
		.amdhsa_exception_fp_ieee_inexact 0
		.amdhsa_exception_int_div_zero 0
	.end_amdhsa_kernel
	.section	.text._ZN9rocsparseL23csr2csr_compress_kernelILi1024ELi256ELi4ELi64EfEEvii21rocsparse_index_base_PKT3_PKiS6_iS1_PS2_S6_PiNS_24const_host_device_scalarIS2_EEb,"axG",@progbits,_ZN9rocsparseL23csr2csr_compress_kernelILi1024ELi256ELi4ELi64EfEEvii21rocsparse_index_base_PKT3_PKiS6_iS1_PS2_S6_PiNS_24const_host_device_scalarIS2_EEb,comdat
.Lfunc_end8:
	.size	_ZN9rocsparseL23csr2csr_compress_kernelILi1024ELi256ELi4ELi64EfEEvii21rocsparse_index_base_PKT3_PKiS6_iS1_PS2_S6_PiNS_24const_host_device_scalarIS2_EEb, .Lfunc_end8-_ZN9rocsparseL23csr2csr_compress_kernelILi1024ELi256ELi4ELi64EfEEvii21rocsparse_index_base_PKT3_PKiS6_iS1_PS2_S6_PiNS_24const_host_device_scalarIS2_EEb
                                        ; -- End function
	.set _ZN9rocsparseL23csr2csr_compress_kernelILi1024ELi256ELi4ELi64EfEEvii21rocsparse_index_base_PKT3_PKiS6_iS1_PS2_S6_PiNS_24const_host_device_scalarIS2_EEb.num_vgpr, 15
	.set _ZN9rocsparseL23csr2csr_compress_kernelILi1024ELi256ELi4ELi64EfEEvii21rocsparse_index_base_PKT3_PKiS6_iS1_PS2_S6_PiNS_24const_host_device_scalarIS2_EEb.num_agpr, 0
	.set _ZN9rocsparseL23csr2csr_compress_kernelILi1024ELi256ELi4ELi64EfEEvii21rocsparse_index_base_PKT3_PKiS6_iS1_PS2_S6_PiNS_24const_host_device_scalarIS2_EEb.numbered_sgpr, 16
	.set _ZN9rocsparseL23csr2csr_compress_kernelILi1024ELi256ELi4ELi64EfEEvii21rocsparse_index_base_PKT3_PKiS6_iS1_PS2_S6_PiNS_24const_host_device_scalarIS2_EEb.num_named_barrier, 0
	.set _ZN9rocsparseL23csr2csr_compress_kernelILi1024ELi256ELi4ELi64EfEEvii21rocsparse_index_base_PKT3_PKiS6_iS1_PS2_S6_PiNS_24const_host_device_scalarIS2_EEb.private_seg_size, 0
	.set _ZN9rocsparseL23csr2csr_compress_kernelILi1024ELi256ELi4ELi64EfEEvii21rocsparse_index_base_PKT3_PKiS6_iS1_PS2_S6_PiNS_24const_host_device_scalarIS2_EEb.uses_vcc, 1
	.set _ZN9rocsparseL23csr2csr_compress_kernelILi1024ELi256ELi4ELi64EfEEvii21rocsparse_index_base_PKT3_PKiS6_iS1_PS2_S6_PiNS_24const_host_device_scalarIS2_EEb.uses_flat_scratch, 0
	.set _ZN9rocsparseL23csr2csr_compress_kernelILi1024ELi256ELi4ELi64EfEEvii21rocsparse_index_base_PKT3_PKiS6_iS1_PS2_S6_PiNS_24const_host_device_scalarIS2_EEb.has_dyn_sized_stack, 0
	.set _ZN9rocsparseL23csr2csr_compress_kernelILi1024ELi256ELi4ELi64EfEEvii21rocsparse_index_base_PKT3_PKiS6_iS1_PS2_S6_PiNS_24const_host_device_scalarIS2_EEb.has_recursion, 0
	.set _ZN9rocsparseL23csr2csr_compress_kernelILi1024ELi256ELi4ELi64EfEEvii21rocsparse_index_base_PKT3_PKiS6_iS1_PS2_S6_PiNS_24const_host_device_scalarIS2_EEb.has_indirect_call, 0
	.section	.AMDGPU.csdata,"",@progbits
; Kernel info:
; codeLenInByte = 560
; TotalNumSgprs: 20
; NumVgprs: 15
; ScratchSize: 0
; MemoryBound: 0
; FloatMode: 240
; IeeeMode: 1
; LDSByteSize: 0 bytes/workgroup (compile time only)
; SGPRBlocks: 2
; VGPRBlocks: 3
; NumSGPRsForWavesPerEU: 20
; NumVGPRsForWavesPerEU: 15
; Occupancy: 10
; WaveLimiterHint : 0
; COMPUTE_PGM_RSRC2:SCRATCH_EN: 0
; COMPUTE_PGM_RSRC2:USER_SGPR: 6
; COMPUTE_PGM_RSRC2:TRAP_HANDLER: 0
; COMPUTE_PGM_RSRC2:TGID_X_EN: 1
; COMPUTE_PGM_RSRC2:TGID_Y_EN: 0
; COMPUTE_PGM_RSRC2:TGID_Z_EN: 0
; COMPUTE_PGM_RSRC2:TIDIG_COMP_CNT: 0
	.section	.text._ZN9rocsparseL23csr2csr_compress_kernelILi1024ELi128ELi8ELi64EfEEvii21rocsparse_index_base_PKT3_PKiS6_iS1_PS2_S6_PiNS_24const_host_device_scalarIS2_EEb,"axG",@progbits,_ZN9rocsparseL23csr2csr_compress_kernelILi1024ELi128ELi8ELi64EfEEvii21rocsparse_index_base_PKT3_PKiS6_iS1_PS2_S6_PiNS_24const_host_device_scalarIS2_EEb,comdat
	.globl	_ZN9rocsparseL23csr2csr_compress_kernelILi1024ELi128ELi8ELi64EfEEvii21rocsparse_index_base_PKT3_PKiS6_iS1_PS2_S6_PiNS_24const_host_device_scalarIS2_EEb ; -- Begin function _ZN9rocsparseL23csr2csr_compress_kernelILi1024ELi128ELi8ELi64EfEEvii21rocsparse_index_base_PKT3_PKiS6_iS1_PS2_S6_PiNS_24const_host_device_scalarIS2_EEb
	.p2align	8
	.type	_ZN9rocsparseL23csr2csr_compress_kernelILi1024ELi128ELi8ELi64EfEEvii21rocsparse_index_base_PKT3_PKiS6_iS1_PS2_S6_PiNS_24const_host_device_scalarIS2_EEb,@function
_ZN9rocsparseL23csr2csr_compress_kernelILi1024ELi128ELi8ELi64EfEEvii21rocsparse_index_base_PKT3_PKiS6_iS1_PS2_S6_PiNS_24const_host_device_scalarIS2_EEb: ; @_ZN9rocsparseL23csr2csr_compress_kernelILi1024ELi128ELi8ELi64EfEEvii21rocsparse_index_base_PKT3_PKiS6_iS1_PS2_S6_PiNS_24const_host_device_scalarIS2_EEb
; %bb.0:
	s_load_dword s0, s[4:5], 0x50
	s_load_dwordx2 s[2:3], s[4:5], 0x48
	s_waitcnt lgkmcnt(0)
	s_bitcmp1_b32 s0, 0
	s_cselect_b64 s[0:1], -1, 0
	s_and_b64 vcc, exec, s[0:1]
	s_cbranch_vccnz .LBB9_2
; %bb.1:
	s_load_dword s2, s[2:3], 0x0
.LBB9_2:
	s_nop 0
	s_load_dword s0, s[4:5], 0x0
	v_lshrrev_b32_e32 v1, 3, v0
	v_lshl_or_b32 v1, s6, 7, v1
	s_waitcnt lgkmcnt(0)
	v_cmp_gt_i32_e32 vcc, s0, v1
	s_and_saveexec_b64 s[0:1], vcc
	s_cbranch_execz .LBB9_8
; %bb.3:
	s_load_dwordx2 s[6:7], s[4:5], 0x18
	s_load_dword s0, s[4:5], 0x8
	v_ashrrev_i32_e32 v2, 31, v1
	v_lshlrev_b64 v[2:3], 2, v[1:2]
	s_waitcnt lgkmcnt(0)
	v_mov_b32_e32 v1, s7
	v_add_co_u32_e32 v4, vcc, s6, v2
	v_addc_co_u32_e32 v5, vcc, v1, v3, vcc
	global_load_dwordx2 v[5:6], v[4:5], off
	v_and_b32_e32 v4, 7, v0
	v_subrev_u32_e32 v1, s0, v4
	s_waitcnt vmcnt(0)
	v_subrev_u32_e32 v7, s0, v6
	v_add_u32_e32 v1, v5, v1
	v_cmp_lt_i32_e32 vcc, v1, v7
	s_and_b64 exec, exec, vcc
	s_cbranch_execz .LBB9_8
; %bb.4:
	s_load_dwordx4 s[8:11], s[4:5], 0x30
	s_load_dwordx2 s[6:7], s[4:5], 0x40
	v_and_b32_e32 v0, 56, v0
	s_waitcnt lgkmcnt(0)
	v_mov_b32_e32 v5, s11
	v_add_co_u32_e32 v2, vcc, s10, v2
	v_addc_co_u32_e32 v3, vcc, v5, v3, vcc
	global_load_dword v5, v[2:3], off
	s_load_dwordx2 s[10:11], s[4:5], 0x10
	s_load_dwordx2 s[12:13], s[4:5], 0x20
	s_load_dword s1, s[4:5], 0x2c
	v_not_b32_e32 v2, v4
	v_mov_b32_e32 v3, 0
	v_mbcnt_lo_u32_b32 v4, -1, 0
	v_lshrrev_b32_e64 v2, v2, -1
	v_mbcnt_hi_u32_b32 v6, -1, v4
	v_lshlrev_b64 v[3:4], v0, v[2:3]
	s_mov_b64 s[4:5], 0
	v_lshl_or_b32 v0, v6, 2, 28
	s_waitcnt lgkmcnt(0)
	s_sub_i32 s3, s1, s0
	v_mov_b32_e32 v8, s11
	s_mov_b32 s11, 0x800000
	s_waitcnt vmcnt(0)
	v_subrev_u32_e32 v9, s1, v5
	s_branch .LBB9_6
.LBB9_5:                                ;   in Loop: Header=BB9_6 Depth=1
	s_or_b64 exec, exec, s[0:1]
	ds_bpermute_b32 v2, v0, v10
	v_add_u32_e32 v1, 8, v1
	v_cmp_ge_i32_e32 vcc, v1, v7
	s_or_b64 s[4:5], vcc, s[4:5]
	s_waitcnt lgkmcnt(0)
	v_add_u32_e32 v9, v2, v9
	s_andn2_b64 exec, exec, s[4:5]
	s_cbranch_execz .LBB9_8
.LBB9_6:                                ; =>This Inner Loop Header: Depth=1
	v_ashrrev_i32_e32 v2, 31, v1
	v_lshlrev_b64 v[5:6], 2, v[1:2]
	v_add_co_u32_e32 v10, vcc, s10, v5
	v_addc_co_u32_e32 v11, vcc, v8, v6, vcc
	global_load_dword v2, v[10:11], off
	s_waitcnt vmcnt(0)
	v_cmp_gt_f32_e32 vcc, 0, v2
	v_cndmask_b32_e64 v10, v2, -v2, vcc
	v_cmp_lt_f32_e32 vcc, s2, v10
	v_cmp_lt_f32_e64 s[0:1], s11, v10
	s_and_b64 s[14:15], vcc, s[0:1]
	v_cndmask_b32_e64 v10, 0, 1, s[14:15]
	v_cmp_ne_u32_e32 vcc, 0, v10
	v_and_b32_e32 v11, vcc_lo, v3
	v_and_b32_e32 v10, vcc_hi, v4
	v_bcnt_u32_b32 v11, v11, 0
	v_bcnt_u32_b32 v10, v10, v11
	s_and_saveexec_b64 s[0:1], s[14:15]
	s_cbranch_execz .LBB9_5
; %bb.7:                                ;   in Loop: Header=BB9_6 Depth=1
	v_mov_b32_e32 v11, s13
	v_add_co_u32_e32 v5, vcc, s12, v5
	v_addc_co_u32_e32 v6, vcc, v11, v6, vcc
	global_load_dword v13, v[5:6], off
	v_ashrrev_i32_e32 v6, 31, v9
	v_add_co_u32_e32 v5, vcc, v9, v10
	v_addc_co_u32_e32 v6, vcc, 0, v6, vcc
	v_lshlrev_b64 v[5:6], 2, v[5:6]
	v_mov_b32_e32 v12, s9
	v_add_co_u32_e32 v11, vcc, s8, v5
	v_addc_co_u32_e32 v12, vcc, v12, v6, vcc
	v_mov_b32_e32 v14, s7
	v_add_co_u32_e32 v5, vcc, s6, v5
	global_store_dword v[11:12], v2, off offset:-4
	v_addc_co_u32_e32 v6, vcc, v14, v6, vcc
	s_waitcnt vmcnt(1)
	v_add_u32_e32 v2, s3, v13
	global_store_dword v[5:6], v2, off offset:-4
	s_branch .LBB9_5
.LBB9_8:
	s_endpgm
	.section	.rodata,"a",@progbits
	.p2align	6, 0x0
	.amdhsa_kernel _ZN9rocsparseL23csr2csr_compress_kernelILi1024ELi128ELi8ELi64EfEEvii21rocsparse_index_base_PKT3_PKiS6_iS1_PS2_S6_PiNS_24const_host_device_scalarIS2_EEb
		.amdhsa_group_segment_fixed_size 0
		.amdhsa_private_segment_fixed_size 0
		.amdhsa_kernarg_size 84
		.amdhsa_user_sgpr_count 6
		.amdhsa_user_sgpr_private_segment_buffer 1
		.amdhsa_user_sgpr_dispatch_ptr 0
		.amdhsa_user_sgpr_queue_ptr 0
		.amdhsa_user_sgpr_kernarg_segment_ptr 1
		.amdhsa_user_sgpr_dispatch_id 0
		.amdhsa_user_sgpr_flat_scratch_init 0
		.amdhsa_user_sgpr_private_segment_size 0
		.amdhsa_uses_dynamic_stack 0
		.amdhsa_system_sgpr_private_segment_wavefront_offset 0
		.amdhsa_system_sgpr_workgroup_id_x 1
		.amdhsa_system_sgpr_workgroup_id_y 0
		.amdhsa_system_sgpr_workgroup_id_z 0
		.amdhsa_system_sgpr_workgroup_info 0
		.amdhsa_system_vgpr_workitem_id 0
		.amdhsa_next_free_vgpr 15
		.amdhsa_next_free_sgpr 16
		.amdhsa_reserve_vcc 1
		.amdhsa_reserve_flat_scratch 0
		.amdhsa_float_round_mode_32 0
		.amdhsa_float_round_mode_16_64 0
		.amdhsa_float_denorm_mode_32 3
		.amdhsa_float_denorm_mode_16_64 3
		.amdhsa_dx10_clamp 1
		.amdhsa_ieee_mode 1
		.amdhsa_fp16_overflow 0
		.amdhsa_exception_fp_ieee_invalid_op 0
		.amdhsa_exception_fp_denorm_src 0
		.amdhsa_exception_fp_ieee_div_zero 0
		.amdhsa_exception_fp_ieee_overflow 0
		.amdhsa_exception_fp_ieee_underflow 0
		.amdhsa_exception_fp_ieee_inexact 0
		.amdhsa_exception_int_div_zero 0
	.end_amdhsa_kernel
	.section	.text._ZN9rocsparseL23csr2csr_compress_kernelILi1024ELi128ELi8ELi64EfEEvii21rocsparse_index_base_PKT3_PKiS6_iS1_PS2_S6_PiNS_24const_host_device_scalarIS2_EEb,"axG",@progbits,_ZN9rocsparseL23csr2csr_compress_kernelILi1024ELi128ELi8ELi64EfEEvii21rocsparse_index_base_PKT3_PKiS6_iS1_PS2_S6_PiNS_24const_host_device_scalarIS2_EEb,comdat
.Lfunc_end9:
	.size	_ZN9rocsparseL23csr2csr_compress_kernelILi1024ELi128ELi8ELi64EfEEvii21rocsparse_index_base_PKT3_PKiS6_iS1_PS2_S6_PiNS_24const_host_device_scalarIS2_EEb, .Lfunc_end9-_ZN9rocsparseL23csr2csr_compress_kernelILi1024ELi128ELi8ELi64EfEEvii21rocsparse_index_base_PKT3_PKiS6_iS1_PS2_S6_PiNS_24const_host_device_scalarIS2_EEb
                                        ; -- End function
	.set _ZN9rocsparseL23csr2csr_compress_kernelILi1024ELi128ELi8ELi64EfEEvii21rocsparse_index_base_PKT3_PKiS6_iS1_PS2_S6_PiNS_24const_host_device_scalarIS2_EEb.num_vgpr, 15
	.set _ZN9rocsparseL23csr2csr_compress_kernelILi1024ELi128ELi8ELi64EfEEvii21rocsparse_index_base_PKT3_PKiS6_iS1_PS2_S6_PiNS_24const_host_device_scalarIS2_EEb.num_agpr, 0
	.set _ZN9rocsparseL23csr2csr_compress_kernelILi1024ELi128ELi8ELi64EfEEvii21rocsparse_index_base_PKT3_PKiS6_iS1_PS2_S6_PiNS_24const_host_device_scalarIS2_EEb.numbered_sgpr, 16
	.set _ZN9rocsparseL23csr2csr_compress_kernelILi1024ELi128ELi8ELi64EfEEvii21rocsparse_index_base_PKT3_PKiS6_iS1_PS2_S6_PiNS_24const_host_device_scalarIS2_EEb.num_named_barrier, 0
	.set _ZN9rocsparseL23csr2csr_compress_kernelILi1024ELi128ELi8ELi64EfEEvii21rocsparse_index_base_PKT3_PKiS6_iS1_PS2_S6_PiNS_24const_host_device_scalarIS2_EEb.private_seg_size, 0
	.set _ZN9rocsparseL23csr2csr_compress_kernelILi1024ELi128ELi8ELi64EfEEvii21rocsparse_index_base_PKT3_PKiS6_iS1_PS2_S6_PiNS_24const_host_device_scalarIS2_EEb.uses_vcc, 1
	.set _ZN9rocsparseL23csr2csr_compress_kernelILi1024ELi128ELi8ELi64EfEEvii21rocsparse_index_base_PKT3_PKiS6_iS1_PS2_S6_PiNS_24const_host_device_scalarIS2_EEb.uses_flat_scratch, 0
	.set _ZN9rocsparseL23csr2csr_compress_kernelILi1024ELi128ELi8ELi64EfEEvii21rocsparse_index_base_PKT3_PKiS6_iS1_PS2_S6_PiNS_24const_host_device_scalarIS2_EEb.has_dyn_sized_stack, 0
	.set _ZN9rocsparseL23csr2csr_compress_kernelILi1024ELi128ELi8ELi64EfEEvii21rocsparse_index_base_PKT3_PKiS6_iS1_PS2_S6_PiNS_24const_host_device_scalarIS2_EEb.has_recursion, 0
	.set _ZN9rocsparseL23csr2csr_compress_kernelILi1024ELi128ELi8ELi64EfEEvii21rocsparse_index_base_PKT3_PKiS6_iS1_PS2_S6_PiNS_24const_host_device_scalarIS2_EEb.has_indirect_call, 0
	.section	.AMDGPU.csdata,"",@progbits
; Kernel info:
; codeLenInByte = 560
; TotalNumSgprs: 20
; NumVgprs: 15
; ScratchSize: 0
; MemoryBound: 0
; FloatMode: 240
; IeeeMode: 1
; LDSByteSize: 0 bytes/workgroup (compile time only)
; SGPRBlocks: 2
; VGPRBlocks: 3
; NumSGPRsForWavesPerEU: 20
; NumVGPRsForWavesPerEU: 15
; Occupancy: 10
; WaveLimiterHint : 0
; COMPUTE_PGM_RSRC2:SCRATCH_EN: 0
; COMPUTE_PGM_RSRC2:USER_SGPR: 6
; COMPUTE_PGM_RSRC2:TRAP_HANDLER: 0
; COMPUTE_PGM_RSRC2:TGID_X_EN: 1
; COMPUTE_PGM_RSRC2:TGID_Y_EN: 0
; COMPUTE_PGM_RSRC2:TGID_Z_EN: 0
; COMPUTE_PGM_RSRC2:TIDIG_COMP_CNT: 0
	.section	.text._ZN9rocsparseL23csr2csr_compress_kernelILi1024ELi64ELi16ELi64EfEEvii21rocsparse_index_base_PKT3_PKiS6_iS1_PS2_S6_PiNS_24const_host_device_scalarIS2_EEb,"axG",@progbits,_ZN9rocsparseL23csr2csr_compress_kernelILi1024ELi64ELi16ELi64EfEEvii21rocsparse_index_base_PKT3_PKiS6_iS1_PS2_S6_PiNS_24const_host_device_scalarIS2_EEb,comdat
	.globl	_ZN9rocsparseL23csr2csr_compress_kernelILi1024ELi64ELi16ELi64EfEEvii21rocsparse_index_base_PKT3_PKiS6_iS1_PS2_S6_PiNS_24const_host_device_scalarIS2_EEb ; -- Begin function _ZN9rocsparseL23csr2csr_compress_kernelILi1024ELi64ELi16ELi64EfEEvii21rocsparse_index_base_PKT3_PKiS6_iS1_PS2_S6_PiNS_24const_host_device_scalarIS2_EEb
	.p2align	8
	.type	_ZN9rocsparseL23csr2csr_compress_kernelILi1024ELi64ELi16ELi64EfEEvii21rocsparse_index_base_PKT3_PKiS6_iS1_PS2_S6_PiNS_24const_host_device_scalarIS2_EEb,@function
_ZN9rocsparseL23csr2csr_compress_kernelILi1024ELi64ELi16ELi64EfEEvii21rocsparse_index_base_PKT3_PKiS6_iS1_PS2_S6_PiNS_24const_host_device_scalarIS2_EEb: ; @_ZN9rocsparseL23csr2csr_compress_kernelILi1024ELi64ELi16ELi64EfEEvii21rocsparse_index_base_PKT3_PKiS6_iS1_PS2_S6_PiNS_24const_host_device_scalarIS2_EEb
; %bb.0:
	s_load_dword s0, s[4:5], 0x50
	s_load_dwordx2 s[2:3], s[4:5], 0x48
	s_waitcnt lgkmcnt(0)
	s_bitcmp1_b32 s0, 0
	s_cselect_b64 s[0:1], -1, 0
	s_and_b64 vcc, exec, s[0:1]
	s_cbranch_vccnz .LBB10_2
; %bb.1:
	s_load_dword s2, s[2:3], 0x0
.LBB10_2:
	s_nop 0
	s_load_dword s0, s[4:5], 0x0
	v_lshrrev_b32_e32 v1, 4, v0
	v_lshl_or_b32 v1, s6, 6, v1
	s_waitcnt lgkmcnt(0)
	v_cmp_gt_i32_e32 vcc, s0, v1
	s_and_saveexec_b64 s[0:1], vcc
	s_cbranch_execz .LBB10_8
; %bb.3:
	s_load_dwordx2 s[6:7], s[4:5], 0x18
	s_load_dword s0, s[4:5], 0x8
	v_ashrrev_i32_e32 v2, 31, v1
	v_lshlrev_b64 v[2:3], 2, v[1:2]
	s_waitcnt lgkmcnt(0)
	v_mov_b32_e32 v1, s7
	v_add_co_u32_e32 v4, vcc, s6, v2
	v_addc_co_u32_e32 v5, vcc, v1, v3, vcc
	global_load_dwordx2 v[5:6], v[4:5], off
	v_and_b32_e32 v4, 15, v0
	v_subrev_u32_e32 v1, s0, v4
	s_waitcnt vmcnt(0)
	v_subrev_u32_e32 v7, s0, v6
	v_add_u32_e32 v1, v5, v1
	v_cmp_lt_i32_e32 vcc, v1, v7
	s_and_b64 exec, exec, vcc
	s_cbranch_execz .LBB10_8
; %bb.4:
	s_load_dwordx4 s[8:11], s[4:5], 0x30
	s_load_dwordx2 s[6:7], s[4:5], 0x40
	v_and_b32_e32 v0, 48, v0
	s_waitcnt lgkmcnt(0)
	v_mov_b32_e32 v5, s11
	v_add_co_u32_e32 v2, vcc, s10, v2
	v_addc_co_u32_e32 v3, vcc, v5, v3, vcc
	global_load_dword v5, v[2:3], off
	s_load_dwordx2 s[10:11], s[4:5], 0x10
	s_load_dwordx2 s[12:13], s[4:5], 0x20
	s_load_dword s1, s[4:5], 0x2c
	v_not_b32_e32 v2, v4
	v_mov_b32_e32 v3, 0
	v_mbcnt_lo_u32_b32 v4, -1, 0
	v_lshrrev_b32_e64 v2, v2, -1
	v_mbcnt_hi_u32_b32 v6, -1, v4
	v_lshlrev_b64 v[3:4], v0, v[2:3]
	s_mov_b64 s[4:5], 0
	v_lshl_or_b32 v0, v6, 2, 60
	s_waitcnt lgkmcnt(0)
	s_sub_i32 s3, s1, s0
	v_mov_b32_e32 v8, s11
	s_mov_b32 s11, 0x800000
	s_waitcnt vmcnt(0)
	v_subrev_u32_e32 v9, s1, v5
	s_branch .LBB10_6
.LBB10_5:                               ;   in Loop: Header=BB10_6 Depth=1
	s_or_b64 exec, exec, s[0:1]
	ds_bpermute_b32 v2, v0, v10
	v_add_u32_e32 v1, 16, v1
	v_cmp_ge_i32_e32 vcc, v1, v7
	s_or_b64 s[4:5], vcc, s[4:5]
	s_waitcnt lgkmcnt(0)
	v_add_u32_e32 v9, v2, v9
	s_andn2_b64 exec, exec, s[4:5]
	s_cbranch_execz .LBB10_8
.LBB10_6:                               ; =>This Inner Loop Header: Depth=1
	v_ashrrev_i32_e32 v2, 31, v1
	v_lshlrev_b64 v[5:6], 2, v[1:2]
	v_add_co_u32_e32 v10, vcc, s10, v5
	v_addc_co_u32_e32 v11, vcc, v8, v6, vcc
	global_load_dword v2, v[10:11], off
	s_waitcnt vmcnt(0)
	v_cmp_gt_f32_e32 vcc, 0, v2
	v_cndmask_b32_e64 v10, v2, -v2, vcc
	v_cmp_lt_f32_e32 vcc, s2, v10
	v_cmp_lt_f32_e64 s[0:1], s11, v10
	s_and_b64 s[14:15], vcc, s[0:1]
	v_cndmask_b32_e64 v10, 0, 1, s[14:15]
	v_cmp_ne_u32_e32 vcc, 0, v10
	v_and_b32_e32 v11, vcc_lo, v3
	v_and_b32_e32 v10, vcc_hi, v4
	v_bcnt_u32_b32 v11, v11, 0
	v_bcnt_u32_b32 v10, v10, v11
	s_and_saveexec_b64 s[0:1], s[14:15]
	s_cbranch_execz .LBB10_5
; %bb.7:                                ;   in Loop: Header=BB10_6 Depth=1
	v_mov_b32_e32 v11, s13
	v_add_co_u32_e32 v5, vcc, s12, v5
	v_addc_co_u32_e32 v6, vcc, v11, v6, vcc
	global_load_dword v13, v[5:6], off
	v_ashrrev_i32_e32 v6, 31, v9
	v_add_co_u32_e32 v5, vcc, v9, v10
	v_addc_co_u32_e32 v6, vcc, 0, v6, vcc
	v_lshlrev_b64 v[5:6], 2, v[5:6]
	v_mov_b32_e32 v12, s9
	v_add_co_u32_e32 v11, vcc, s8, v5
	v_addc_co_u32_e32 v12, vcc, v12, v6, vcc
	v_mov_b32_e32 v14, s7
	v_add_co_u32_e32 v5, vcc, s6, v5
	global_store_dword v[11:12], v2, off offset:-4
	v_addc_co_u32_e32 v6, vcc, v14, v6, vcc
	s_waitcnt vmcnt(1)
	v_add_u32_e32 v2, s3, v13
	global_store_dword v[5:6], v2, off offset:-4
	s_branch .LBB10_5
.LBB10_8:
	s_endpgm
	.section	.rodata,"a",@progbits
	.p2align	6, 0x0
	.amdhsa_kernel _ZN9rocsparseL23csr2csr_compress_kernelILi1024ELi64ELi16ELi64EfEEvii21rocsparse_index_base_PKT3_PKiS6_iS1_PS2_S6_PiNS_24const_host_device_scalarIS2_EEb
		.amdhsa_group_segment_fixed_size 0
		.amdhsa_private_segment_fixed_size 0
		.amdhsa_kernarg_size 84
		.amdhsa_user_sgpr_count 6
		.amdhsa_user_sgpr_private_segment_buffer 1
		.amdhsa_user_sgpr_dispatch_ptr 0
		.amdhsa_user_sgpr_queue_ptr 0
		.amdhsa_user_sgpr_kernarg_segment_ptr 1
		.amdhsa_user_sgpr_dispatch_id 0
		.amdhsa_user_sgpr_flat_scratch_init 0
		.amdhsa_user_sgpr_private_segment_size 0
		.amdhsa_uses_dynamic_stack 0
		.amdhsa_system_sgpr_private_segment_wavefront_offset 0
		.amdhsa_system_sgpr_workgroup_id_x 1
		.amdhsa_system_sgpr_workgroup_id_y 0
		.amdhsa_system_sgpr_workgroup_id_z 0
		.amdhsa_system_sgpr_workgroup_info 0
		.amdhsa_system_vgpr_workitem_id 0
		.amdhsa_next_free_vgpr 15
		.amdhsa_next_free_sgpr 16
		.amdhsa_reserve_vcc 1
		.amdhsa_reserve_flat_scratch 0
		.amdhsa_float_round_mode_32 0
		.amdhsa_float_round_mode_16_64 0
		.amdhsa_float_denorm_mode_32 3
		.amdhsa_float_denorm_mode_16_64 3
		.amdhsa_dx10_clamp 1
		.amdhsa_ieee_mode 1
		.amdhsa_fp16_overflow 0
		.amdhsa_exception_fp_ieee_invalid_op 0
		.amdhsa_exception_fp_denorm_src 0
		.amdhsa_exception_fp_ieee_div_zero 0
		.amdhsa_exception_fp_ieee_overflow 0
		.amdhsa_exception_fp_ieee_underflow 0
		.amdhsa_exception_fp_ieee_inexact 0
		.amdhsa_exception_int_div_zero 0
	.end_amdhsa_kernel
	.section	.text._ZN9rocsparseL23csr2csr_compress_kernelILi1024ELi64ELi16ELi64EfEEvii21rocsparse_index_base_PKT3_PKiS6_iS1_PS2_S6_PiNS_24const_host_device_scalarIS2_EEb,"axG",@progbits,_ZN9rocsparseL23csr2csr_compress_kernelILi1024ELi64ELi16ELi64EfEEvii21rocsparse_index_base_PKT3_PKiS6_iS1_PS2_S6_PiNS_24const_host_device_scalarIS2_EEb,comdat
.Lfunc_end10:
	.size	_ZN9rocsparseL23csr2csr_compress_kernelILi1024ELi64ELi16ELi64EfEEvii21rocsparse_index_base_PKT3_PKiS6_iS1_PS2_S6_PiNS_24const_host_device_scalarIS2_EEb, .Lfunc_end10-_ZN9rocsparseL23csr2csr_compress_kernelILi1024ELi64ELi16ELi64EfEEvii21rocsparse_index_base_PKT3_PKiS6_iS1_PS2_S6_PiNS_24const_host_device_scalarIS2_EEb
                                        ; -- End function
	.set _ZN9rocsparseL23csr2csr_compress_kernelILi1024ELi64ELi16ELi64EfEEvii21rocsparse_index_base_PKT3_PKiS6_iS1_PS2_S6_PiNS_24const_host_device_scalarIS2_EEb.num_vgpr, 15
	.set _ZN9rocsparseL23csr2csr_compress_kernelILi1024ELi64ELi16ELi64EfEEvii21rocsparse_index_base_PKT3_PKiS6_iS1_PS2_S6_PiNS_24const_host_device_scalarIS2_EEb.num_agpr, 0
	.set _ZN9rocsparseL23csr2csr_compress_kernelILi1024ELi64ELi16ELi64EfEEvii21rocsparse_index_base_PKT3_PKiS6_iS1_PS2_S6_PiNS_24const_host_device_scalarIS2_EEb.numbered_sgpr, 16
	.set _ZN9rocsparseL23csr2csr_compress_kernelILi1024ELi64ELi16ELi64EfEEvii21rocsparse_index_base_PKT3_PKiS6_iS1_PS2_S6_PiNS_24const_host_device_scalarIS2_EEb.num_named_barrier, 0
	.set _ZN9rocsparseL23csr2csr_compress_kernelILi1024ELi64ELi16ELi64EfEEvii21rocsparse_index_base_PKT3_PKiS6_iS1_PS2_S6_PiNS_24const_host_device_scalarIS2_EEb.private_seg_size, 0
	.set _ZN9rocsparseL23csr2csr_compress_kernelILi1024ELi64ELi16ELi64EfEEvii21rocsparse_index_base_PKT3_PKiS6_iS1_PS2_S6_PiNS_24const_host_device_scalarIS2_EEb.uses_vcc, 1
	.set _ZN9rocsparseL23csr2csr_compress_kernelILi1024ELi64ELi16ELi64EfEEvii21rocsparse_index_base_PKT3_PKiS6_iS1_PS2_S6_PiNS_24const_host_device_scalarIS2_EEb.uses_flat_scratch, 0
	.set _ZN9rocsparseL23csr2csr_compress_kernelILi1024ELi64ELi16ELi64EfEEvii21rocsparse_index_base_PKT3_PKiS6_iS1_PS2_S6_PiNS_24const_host_device_scalarIS2_EEb.has_dyn_sized_stack, 0
	.set _ZN9rocsparseL23csr2csr_compress_kernelILi1024ELi64ELi16ELi64EfEEvii21rocsparse_index_base_PKT3_PKiS6_iS1_PS2_S6_PiNS_24const_host_device_scalarIS2_EEb.has_recursion, 0
	.set _ZN9rocsparseL23csr2csr_compress_kernelILi1024ELi64ELi16ELi64EfEEvii21rocsparse_index_base_PKT3_PKiS6_iS1_PS2_S6_PiNS_24const_host_device_scalarIS2_EEb.has_indirect_call, 0
	.section	.AMDGPU.csdata,"",@progbits
; Kernel info:
; codeLenInByte = 560
; TotalNumSgprs: 20
; NumVgprs: 15
; ScratchSize: 0
; MemoryBound: 0
; FloatMode: 240
; IeeeMode: 1
; LDSByteSize: 0 bytes/workgroup (compile time only)
; SGPRBlocks: 2
; VGPRBlocks: 3
; NumSGPRsForWavesPerEU: 20
; NumVGPRsForWavesPerEU: 15
; Occupancy: 10
; WaveLimiterHint : 0
; COMPUTE_PGM_RSRC2:SCRATCH_EN: 0
; COMPUTE_PGM_RSRC2:USER_SGPR: 6
; COMPUTE_PGM_RSRC2:TRAP_HANDLER: 0
; COMPUTE_PGM_RSRC2:TGID_X_EN: 1
; COMPUTE_PGM_RSRC2:TGID_Y_EN: 0
; COMPUTE_PGM_RSRC2:TGID_Z_EN: 0
; COMPUTE_PGM_RSRC2:TIDIG_COMP_CNT: 0
	.section	.text._ZN9rocsparseL23csr2csr_compress_kernelILi1024ELi32ELi32ELi64EfEEvii21rocsparse_index_base_PKT3_PKiS6_iS1_PS2_S6_PiNS_24const_host_device_scalarIS2_EEb,"axG",@progbits,_ZN9rocsparseL23csr2csr_compress_kernelILi1024ELi32ELi32ELi64EfEEvii21rocsparse_index_base_PKT3_PKiS6_iS1_PS2_S6_PiNS_24const_host_device_scalarIS2_EEb,comdat
	.globl	_ZN9rocsparseL23csr2csr_compress_kernelILi1024ELi32ELi32ELi64EfEEvii21rocsparse_index_base_PKT3_PKiS6_iS1_PS2_S6_PiNS_24const_host_device_scalarIS2_EEb ; -- Begin function _ZN9rocsparseL23csr2csr_compress_kernelILi1024ELi32ELi32ELi64EfEEvii21rocsparse_index_base_PKT3_PKiS6_iS1_PS2_S6_PiNS_24const_host_device_scalarIS2_EEb
	.p2align	8
	.type	_ZN9rocsparseL23csr2csr_compress_kernelILi1024ELi32ELi32ELi64EfEEvii21rocsparse_index_base_PKT3_PKiS6_iS1_PS2_S6_PiNS_24const_host_device_scalarIS2_EEb,@function
_ZN9rocsparseL23csr2csr_compress_kernelILi1024ELi32ELi32ELi64EfEEvii21rocsparse_index_base_PKT3_PKiS6_iS1_PS2_S6_PiNS_24const_host_device_scalarIS2_EEb: ; @_ZN9rocsparseL23csr2csr_compress_kernelILi1024ELi32ELi32ELi64EfEEvii21rocsparse_index_base_PKT3_PKiS6_iS1_PS2_S6_PiNS_24const_host_device_scalarIS2_EEb
; %bb.0:
	s_load_dword s0, s[4:5], 0x50
	s_load_dwordx2 s[2:3], s[4:5], 0x48
	s_waitcnt lgkmcnt(0)
	s_bitcmp1_b32 s0, 0
	s_cselect_b64 s[0:1], -1, 0
	s_and_b64 vcc, exec, s[0:1]
	s_cbranch_vccnz .LBB11_2
; %bb.1:
	s_load_dword s2, s[2:3], 0x0
.LBB11_2:
	s_nop 0
	s_load_dword s0, s[4:5], 0x0
	v_lshrrev_b32_e32 v1, 5, v0
	v_lshl_or_b32 v1, s6, 5, v1
	s_waitcnt lgkmcnt(0)
	v_cmp_gt_i32_e32 vcc, s0, v1
	s_and_saveexec_b64 s[0:1], vcc
	s_cbranch_execz .LBB11_8
; %bb.3:
	s_load_dwordx2 s[6:7], s[4:5], 0x18
	s_load_dword s0, s[4:5], 0x8
	v_ashrrev_i32_e32 v2, 31, v1
	v_lshlrev_b64 v[2:3], 2, v[1:2]
	s_waitcnt lgkmcnt(0)
	v_mov_b32_e32 v1, s7
	v_add_co_u32_e32 v4, vcc, s6, v2
	v_addc_co_u32_e32 v5, vcc, v1, v3, vcc
	global_load_dwordx2 v[5:6], v[4:5], off
	v_and_b32_e32 v4, 31, v0
	v_subrev_u32_e32 v1, s0, v4
	s_waitcnt vmcnt(0)
	v_subrev_u32_e32 v7, s0, v6
	v_add_u32_e32 v1, v5, v1
	v_cmp_lt_i32_e32 vcc, v1, v7
	s_and_b64 exec, exec, vcc
	s_cbranch_execz .LBB11_8
; %bb.4:
	s_load_dwordx4 s[8:11], s[4:5], 0x30
	s_load_dwordx2 s[6:7], s[4:5], 0x40
	v_and_b32_e32 v0, 32, v0
	v_mov_b32_e32 v6, 0x7c
	s_waitcnt lgkmcnt(0)
	v_mov_b32_e32 v5, s11
	v_add_co_u32_e32 v2, vcc, s10, v2
	v_addc_co_u32_e32 v3, vcc, v5, v3, vcc
	global_load_dword v5, v[2:3], off
	s_load_dwordx2 s[10:11], s[4:5], 0x10
	s_load_dwordx2 s[12:13], s[4:5], 0x20
	s_load_dword s1, s[4:5], 0x2c
	v_xor_b32_e32 v2, 31, v4
	v_mov_b32_e32 v3, 0
	v_mbcnt_lo_u32_b32 v4, -1, 0
	v_lshrrev_b32_e64 v2, v2, -1
	v_mbcnt_hi_u32_b32 v8, -1, v4
	v_lshlrev_b64 v[3:4], v0, v[2:3]
	s_mov_b64 s[4:5], 0
	v_lshl_or_b32 v0, v8, 2, v6
	s_waitcnt lgkmcnt(0)
	s_sub_i32 s3, s1, s0
	v_mov_b32_e32 v8, s11
	s_mov_b32 s11, 0x800000
	s_waitcnt vmcnt(0)
	v_subrev_u32_e32 v9, s1, v5
	s_branch .LBB11_6
.LBB11_5:                               ;   in Loop: Header=BB11_6 Depth=1
	s_or_b64 exec, exec, s[0:1]
	ds_bpermute_b32 v2, v0, v10
	v_add_u32_e32 v1, 32, v1
	v_cmp_ge_i32_e32 vcc, v1, v7
	s_or_b64 s[4:5], vcc, s[4:5]
	s_waitcnt lgkmcnt(0)
	v_add_u32_e32 v9, v2, v9
	s_andn2_b64 exec, exec, s[4:5]
	s_cbranch_execz .LBB11_8
.LBB11_6:                               ; =>This Inner Loop Header: Depth=1
	v_ashrrev_i32_e32 v2, 31, v1
	v_lshlrev_b64 v[5:6], 2, v[1:2]
	v_add_co_u32_e32 v10, vcc, s10, v5
	v_addc_co_u32_e32 v11, vcc, v8, v6, vcc
	global_load_dword v2, v[10:11], off
	s_waitcnt vmcnt(0)
	v_cmp_gt_f32_e32 vcc, 0, v2
	v_cndmask_b32_e64 v10, v2, -v2, vcc
	v_cmp_lt_f32_e32 vcc, s2, v10
	v_cmp_lt_f32_e64 s[0:1], s11, v10
	s_and_b64 s[14:15], vcc, s[0:1]
	v_cndmask_b32_e64 v10, 0, 1, s[14:15]
	v_cmp_ne_u32_e32 vcc, 0, v10
	v_and_b32_e32 v11, vcc_lo, v3
	v_and_b32_e32 v10, vcc_hi, v4
	v_bcnt_u32_b32 v11, v11, 0
	v_bcnt_u32_b32 v10, v10, v11
	s_and_saveexec_b64 s[0:1], s[14:15]
	s_cbranch_execz .LBB11_5
; %bb.7:                                ;   in Loop: Header=BB11_6 Depth=1
	v_mov_b32_e32 v11, s13
	v_add_co_u32_e32 v5, vcc, s12, v5
	v_addc_co_u32_e32 v6, vcc, v11, v6, vcc
	global_load_dword v13, v[5:6], off
	v_ashrrev_i32_e32 v6, 31, v9
	v_add_co_u32_e32 v5, vcc, v9, v10
	v_addc_co_u32_e32 v6, vcc, 0, v6, vcc
	v_lshlrev_b64 v[5:6], 2, v[5:6]
	v_mov_b32_e32 v12, s9
	v_add_co_u32_e32 v11, vcc, s8, v5
	v_addc_co_u32_e32 v12, vcc, v12, v6, vcc
	v_mov_b32_e32 v14, s7
	v_add_co_u32_e32 v5, vcc, s6, v5
	global_store_dword v[11:12], v2, off offset:-4
	v_addc_co_u32_e32 v6, vcc, v14, v6, vcc
	s_waitcnt vmcnt(1)
	v_add_u32_e32 v2, s3, v13
	global_store_dword v[5:6], v2, off offset:-4
	s_branch .LBB11_5
.LBB11_8:
	s_endpgm
	.section	.rodata,"a",@progbits
	.p2align	6, 0x0
	.amdhsa_kernel _ZN9rocsparseL23csr2csr_compress_kernelILi1024ELi32ELi32ELi64EfEEvii21rocsparse_index_base_PKT3_PKiS6_iS1_PS2_S6_PiNS_24const_host_device_scalarIS2_EEb
		.amdhsa_group_segment_fixed_size 0
		.amdhsa_private_segment_fixed_size 0
		.amdhsa_kernarg_size 84
		.amdhsa_user_sgpr_count 6
		.amdhsa_user_sgpr_private_segment_buffer 1
		.amdhsa_user_sgpr_dispatch_ptr 0
		.amdhsa_user_sgpr_queue_ptr 0
		.amdhsa_user_sgpr_kernarg_segment_ptr 1
		.amdhsa_user_sgpr_dispatch_id 0
		.amdhsa_user_sgpr_flat_scratch_init 0
		.amdhsa_user_sgpr_private_segment_size 0
		.amdhsa_uses_dynamic_stack 0
		.amdhsa_system_sgpr_private_segment_wavefront_offset 0
		.amdhsa_system_sgpr_workgroup_id_x 1
		.amdhsa_system_sgpr_workgroup_id_y 0
		.amdhsa_system_sgpr_workgroup_id_z 0
		.amdhsa_system_sgpr_workgroup_info 0
		.amdhsa_system_vgpr_workitem_id 0
		.amdhsa_next_free_vgpr 15
		.amdhsa_next_free_sgpr 16
		.amdhsa_reserve_vcc 1
		.amdhsa_reserve_flat_scratch 0
		.amdhsa_float_round_mode_32 0
		.amdhsa_float_round_mode_16_64 0
		.amdhsa_float_denorm_mode_32 3
		.amdhsa_float_denorm_mode_16_64 3
		.amdhsa_dx10_clamp 1
		.amdhsa_ieee_mode 1
		.amdhsa_fp16_overflow 0
		.amdhsa_exception_fp_ieee_invalid_op 0
		.amdhsa_exception_fp_denorm_src 0
		.amdhsa_exception_fp_ieee_div_zero 0
		.amdhsa_exception_fp_ieee_overflow 0
		.amdhsa_exception_fp_ieee_underflow 0
		.amdhsa_exception_fp_ieee_inexact 0
		.amdhsa_exception_int_div_zero 0
	.end_amdhsa_kernel
	.section	.text._ZN9rocsparseL23csr2csr_compress_kernelILi1024ELi32ELi32ELi64EfEEvii21rocsparse_index_base_PKT3_PKiS6_iS1_PS2_S6_PiNS_24const_host_device_scalarIS2_EEb,"axG",@progbits,_ZN9rocsparseL23csr2csr_compress_kernelILi1024ELi32ELi32ELi64EfEEvii21rocsparse_index_base_PKT3_PKiS6_iS1_PS2_S6_PiNS_24const_host_device_scalarIS2_EEb,comdat
.Lfunc_end11:
	.size	_ZN9rocsparseL23csr2csr_compress_kernelILi1024ELi32ELi32ELi64EfEEvii21rocsparse_index_base_PKT3_PKiS6_iS1_PS2_S6_PiNS_24const_host_device_scalarIS2_EEb, .Lfunc_end11-_ZN9rocsparseL23csr2csr_compress_kernelILi1024ELi32ELi32ELi64EfEEvii21rocsparse_index_base_PKT3_PKiS6_iS1_PS2_S6_PiNS_24const_host_device_scalarIS2_EEb
                                        ; -- End function
	.set _ZN9rocsparseL23csr2csr_compress_kernelILi1024ELi32ELi32ELi64EfEEvii21rocsparse_index_base_PKT3_PKiS6_iS1_PS2_S6_PiNS_24const_host_device_scalarIS2_EEb.num_vgpr, 15
	.set _ZN9rocsparseL23csr2csr_compress_kernelILi1024ELi32ELi32ELi64EfEEvii21rocsparse_index_base_PKT3_PKiS6_iS1_PS2_S6_PiNS_24const_host_device_scalarIS2_EEb.num_agpr, 0
	.set _ZN9rocsparseL23csr2csr_compress_kernelILi1024ELi32ELi32ELi64EfEEvii21rocsparse_index_base_PKT3_PKiS6_iS1_PS2_S6_PiNS_24const_host_device_scalarIS2_EEb.numbered_sgpr, 16
	.set _ZN9rocsparseL23csr2csr_compress_kernelILi1024ELi32ELi32ELi64EfEEvii21rocsparse_index_base_PKT3_PKiS6_iS1_PS2_S6_PiNS_24const_host_device_scalarIS2_EEb.num_named_barrier, 0
	.set _ZN9rocsparseL23csr2csr_compress_kernelILi1024ELi32ELi32ELi64EfEEvii21rocsparse_index_base_PKT3_PKiS6_iS1_PS2_S6_PiNS_24const_host_device_scalarIS2_EEb.private_seg_size, 0
	.set _ZN9rocsparseL23csr2csr_compress_kernelILi1024ELi32ELi32ELi64EfEEvii21rocsparse_index_base_PKT3_PKiS6_iS1_PS2_S6_PiNS_24const_host_device_scalarIS2_EEb.uses_vcc, 1
	.set _ZN9rocsparseL23csr2csr_compress_kernelILi1024ELi32ELi32ELi64EfEEvii21rocsparse_index_base_PKT3_PKiS6_iS1_PS2_S6_PiNS_24const_host_device_scalarIS2_EEb.uses_flat_scratch, 0
	.set _ZN9rocsparseL23csr2csr_compress_kernelILi1024ELi32ELi32ELi64EfEEvii21rocsparse_index_base_PKT3_PKiS6_iS1_PS2_S6_PiNS_24const_host_device_scalarIS2_EEb.has_dyn_sized_stack, 0
	.set _ZN9rocsparseL23csr2csr_compress_kernelILi1024ELi32ELi32ELi64EfEEvii21rocsparse_index_base_PKT3_PKiS6_iS1_PS2_S6_PiNS_24const_host_device_scalarIS2_EEb.has_recursion, 0
	.set _ZN9rocsparseL23csr2csr_compress_kernelILi1024ELi32ELi32ELi64EfEEvii21rocsparse_index_base_PKT3_PKiS6_iS1_PS2_S6_PiNS_24const_host_device_scalarIS2_EEb.has_indirect_call, 0
	.section	.AMDGPU.csdata,"",@progbits
; Kernel info:
; codeLenInByte = 568
; TotalNumSgprs: 20
; NumVgprs: 15
; ScratchSize: 0
; MemoryBound: 0
; FloatMode: 240
; IeeeMode: 1
; LDSByteSize: 0 bytes/workgroup (compile time only)
; SGPRBlocks: 2
; VGPRBlocks: 3
; NumSGPRsForWavesPerEU: 20
; NumVGPRsForWavesPerEU: 15
; Occupancy: 10
; WaveLimiterHint : 0
; COMPUTE_PGM_RSRC2:SCRATCH_EN: 0
; COMPUTE_PGM_RSRC2:USER_SGPR: 6
; COMPUTE_PGM_RSRC2:TRAP_HANDLER: 0
; COMPUTE_PGM_RSRC2:TGID_X_EN: 1
; COMPUTE_PGM_RSRC2:TGID_Y_EN: 0
; COMPUTE_PGM_RSRC2:TGID_Z_EN: 0
; COMPUTE_PGM_RSRC2:TIDIG_COMP_CNT: 0
	.section	.text._ZN9rocsparseL23csr2csr_compress_kernelILi1024ELi16ELi64ELi64EfEEvii21rocsparse_index_base_PKT3_PKiS6_iS1_PS2_S6_PiNS_24const_host_device_scalarIS2_EEb,"axG",@progbits,_ZN9rocsparseL23csr2csr_compress_kernelILi1024ELi16ELi64ELi64EfEEvii21rocsparse_index_base_PKT3_PKiS6_iS1_PS2_S6_PiNS_24const_host_device_scalarIS2_EEb,comdat
	.globl	_ZN9rocsparseL23csr2csr_compress_kernelILi1024ELi16ELi64ELi64EfEEvii21rocsparse_index_base_PKT3_PKiS6_iS1_PS2_S6_PiNS_24const_host_device_scalarIS2_EEb ; -- Begin function _ZN9rocsparseL23csr2csr_compress_kernelILi1024ELi16ELi64ELi64EfEEvii21rocsparse_index_base_PKT3_PKiS6_iS1_PS2_S6_PiNS_24const_host_device_scalarIS2_EEb
	.p2align	8
	.type	_ZN9rocsparseL23csr2csr_compress_kernelILi1024ELi16ELi64ELi64EfEEvii21rocsparse_index_base_PKT3_PKiS6_iS1_PS2_S6_PiNS_24const_host_device_scalarIS2_EEb,@function
_ZN9rocsparseL23csr2csr_compress_kernelILi1024ELi16ELi64ELi64EfEEvii21rocsparse_index_base_PKT3_PKiS6_iS1_PS2_S6_PiNS_24const_host_device_scalarIS2_EEb: ; @_ZN9rocsparseL23csr2csr_compress_kernelILi1024ELi16ELi64ELi64EfEEvii21rocsparse_index_base_PKT3_PKiS6_iS1_PS2_S6_PiNS_24const_host_device_scalarIS2_EEb
; %bb.0:
	s_load_dword s0, s[4:5], 0x50
	s_load_dwordx2 s[2:3], s[4:5], 0x48
	s_waitcnt lgkmcnt(0)
	s_bitcmp1_b32 s0, 0
	s_cselect_b64 s[0:1], -1, 0
	s_and_b64 vcc, exec, s[0:1]
	s_cbranch_vccnz .LBB12_2
; %bb.1:
	s_load_dword s2, s[2:3], 0x0
.LBB12_2:
	s_nop 0
	s_load_dword s0, s[4:5], 0x0
	v_lshrrev_b32_e32 v1, 6, v0
	v_lshl_or_b32 v1, s6, 4, v1
	s_waitcnt lgkmcnt(0)
	v_cmp_gt_i32_e32 vcc, s0, v1
	s_and_saveexec_b64 s[0:1], vcc
	s_cbranch_execz .LBB12_8
; %bb.3:
	s_load_dwordx2 s[6:7], s[4:5], 0x18
	s_load_dword s0, s[4:5], 0x8
	v_ashrrev_i32_e32 v2, 31, v1
	v_lshlrev_b64 v[1:2], 2, v[1:2]
	s_waitcnt lgkmcnt(0)
	v_mov_b32_e32 v4, s7
	v_add_co_u32_e32 v3, vcc, s6, v1
	v_addc_co_u32_e32 v4, vcc, v4, v2, vcc
	global_load_dwordx2 v[4:5], v[3:4], off
	v_and_b32_e32 v3, 63, v0
	v_subrev_u32_e32 v0, s0, v3
	s_waitcnt vmcnt(0)
	v_subrev_u32_e32 v6, s0, v5
	v_add_u32_e32 v0, v4, v0
	v_cmp_lt_i32_e32 vcc, v0, v6
	s_and_b64 exec, exec, vcc
	s_cbranch_execz .LBB12_8
; %bb.4:
	s_load_dwordx4 s[8:11], s[4:5], 0x30
	s_load_dwordx2 s[6:7], s[4:5], 0x40
	v_bfrev_b32_e32 v5, 0.5
	s_waitcnt lgkmcnt(0)
	v_mov_b32_e32 v4, s11
	v_add_co_u32_e32 v1, vcc, s10, v1
	v_addc_co_u32_e32 v2, vcc, v4, v2, vcc
	global_load_dword v1, v[1:2], off
	s_load_dwordx2 s[10:11], s[4:5], 0x10
	s_load_dwordx2 s[12:13], s[4:5], 0x20
	s_load_dword s1, s[4:5], 0x2c
	v_xor_b32_e32 v2, 63, v3
	v_mbcnt_lo_u32_b32 v4, -1, 0
	v_lshrrev_b64 v[2:3], v2, -1
	v_mbcnt_hi_u32_b32 v4, -1, v4
	s_mov_b64 s[4:5], 0
	v_lshl_or_b32 v7, v4, 2, v5
	s_waitcnt lgkmcnt(0)
	s_sub_i32 s3, s1, s0
	v_mov_b32_e32 v8, s11
	s_mov_b32 s11, 0x800000
	s_waitcnt vmcnt(0)
	v_subrev_u32_e32 v9, s1, v1
	s_branch .LBB12_6
.LBB12_5:                               ;   in Loop: Header=BB12_6 Depth=1
	s_or_b64 exec, exec, s[0:1]
	ds_bpermute_b32 v1, v7, v10
	v_add_u32_e32 v0, 64, v0
	v_cmp_ge_i32_e32 vcc, v0, v6
	s_or_b64 s[4:5], vcc, s[4:5]
	s_waitcnt lgkmcnt(0)
	v_add_u32_e32 v9, v1, v9
	s_andn2_b64 exec, exec, s[4:5]
	s_cbranch_execz .LBB12_8
.LBB12_6:                               ; =>This Inner Loop Header: Depth=1
	v_ashrrev_i32_e32 v1, 31, v0
	v_lshlrev_b64 v[4:5], 2, v[0:1]
	v_add_co_u32_e32 v10, vcc, s10, v4
	v_addc_co_u32_e32 v11, vcc, v8, v5, vcc
	global_load_dword v1, v[10:11], off
	s_waitcnt vmcnt(0)
	v_cmp_gt_f32_e32 vcc, 0, v1
	v_cndmask_b32_e64 v10, v1, -v1, vcc
	v_cmp_lt_f32_e32 vcc, s2, v10
	v_cmp_lt_f32_e64 s[0:1], s11, v10
	s_and_b64 s[14:15], vcc, s[0:1]
	v_cndmask_b32_e64 v10, 0, 1, s[14:15]
	v_cmp_ne_u32_e32 vcc, 0, v10
	v_and_b32_e32 v11, vcc_lo, v2
	v_and_b32_e32 v10, vcc_hi, v3
	v_bcnt_u32_b32 v11, v11, 0
	v_bcnt_u32_b32 v10, v10, v11
	s_and_saveexec_b64 s[0:1], s[14:15]
	s_cbranch_execz .LBB12_5
; %bb.7:                                ;   in Loop: Header=BB12_6 Depth=1
	v_mov_b32_e32 v11, s13
	v_add_co_u32_e32 v4, vcc, s12, v4
	v_addc_co_u32_e32 v5, vcc, v11, v5, vcc
	global_load_dword v13, v[4:5], off
	v_ashrrev_i32_e32 v5, 31, v9
	v_add_co_u32_e32 v4, vcc, v9, v10
	v_addc_co_u32_e32 v5, vcc, 0, v5, vcc
	v_lshlrev_b64 v[4:5], 2, v[4:5]
	v_mov_b32_e32 v12, s9
	v_add_co_u32_e32 v11, vcc, s8, v4
	v_addc_co_u32_e32 v12, vcc, v12, v5, vcc
	v_mov_b32_e32 v14, s7
	v_add_co_u32_e32 v4, vcc, s6, v4
	global_store_dword v[11:12], v1, off offset:-4
	v_addc_co_u32_e32 v5, vcc, v14, v5, vcc
	s_waitcnt vmcnt(1)
	v_add_u32_e32 v1, s3, v13
	global_store_dword v[4:5], v1, off offset:-4
	s_branch .LBB12_5
.LBB12_8:
	s_endpgm
	.section	.rodata,"a",@progbits
	.p2align	6, 0x0
	.amdhsa_kernel _ZN9rocsparseL23csr2csr_compress_kernelILi1024ELi16ELi64ELi64EfEEvii21rocsparse_index_base_PKT3_PKiS6_iS1_PS2_S6_PiNS_24const_host_device_scalarIS2_EEb
		.amdhsa_group_segment_fixed_size 0
		.amdhsa_private_segment_fixed_size 0
		.amdhsa_kernarg_size 84
		.amdhsa_user_sgpr_count 6
		.amdhsa_user_sgpr_private_segment_buffer 1
		.amdhsa_user_sgpr_dispatch_ptr 0
		.amdhsa_user_sgpr_queue_ptr 0
		.amdhsa_user_sgpr_kernarg_segment_ptr 1
		.amdhsa_user_sgpr_dispatch_id 0
		.amdhsa_user_sgpr_flat_scratch_init 0
		.amdhsa_user_sgpr_private_segment_size 0
		.amdhsa_uses_dynamic_stack 0
		.amdhsa_system_sgpr_private_segment_wavefront_offset 0
		.amdhsa_system_sgpr_workgroup_id_x 1
		.amdhsa_system_sgpr_workgroup_id_y 0
		.amdhsa_system_sgpr_workgroup_id_z 0
		.amdhsa_system_sgpr_workgroup_info 0
		.amdhsa_system_vgpr_workitem_id 0
		.amdhsa_next_free_vgpr 15
		.amdhsa_next_free_sgpr 16
		.amdhsa_reserve_vcc 1
		.amdhsa_reserve_flat_scratch 0
		.amdhsa_float_round_mode_32 0
		.amdhsa_float_round_mode_16_64 0
		.amdhsa_float_denorm_mode_32 3
		.amdhsa_float_denorm_mode_16_64 3
		.amdhsa_dx10_clamp 1
		.amdhsa_ieee_mode 1
		.amdhsa_fp16_overflow 0
		.amdhsa_exception_fp_ieee_invalid_op 0
		.amdhsa_exception_fp_denorm_src 0
		.amdhsa_exception_fp_ieee_div_zero 0
		.amdhsa_exception_fp_ieee_overflow 0
		.amdhsa_exception_fp_ieee_underflow 0
		.amdhsa_exception_fp_ieee_inexact 0
		.amdhsa_exception_int_div_zero 0
	.end_amdhsa_kernel
	.section	.text._ZN9rocsparseL23csr2csr_compress_kernelILi1024ELi16ELi64ELi64EfEEvii21rocsparse_index_base_PKT3_PKiS6_iS1_PS2_S6_PiNS_24const_host_device_scalarIS2_EEb,"axG",@progbits,_ZN9rocsparseL23csr2csr_compress_kernelILi1024ELi16ELi64ELi64EfEEvii21rocsparse_index_base_PKT3_PKiS6_iS1_PS2_S6_PiNS_24const_host_device_scalarIS2_EEb,comdat
.Lfunc_end12:
	.size	_ZN9rocsparseL23csr2csr_compress_kernelILi1024ELi16ELi64ELi64EfEEvii21rocsparse_index_base_PKT3_PKiS6_iS1_PS2_S6_PiNS_24const_host_device_scalarIS2_EEb, .Lfunc_end12-_ZN9rocsparseL23csr2csr_compress_kernelILi1024ELi16ELi64ELi64EfEEvii21rocsparse_index_base_PKT3_PKiS6_iS1_PS2_S6_PiNS_24const_host_device_scalarIS2_EEb
                                        ; -- End function
	.set _ZN9rocsparseL23csr2csr_compress_kernelILi1024ELi16ELi64ELi64EfEEvii21rocsparse_index_base_PKT3_PKiS6_iS1_PS2_S6_PiNS_24const_host_device_scalarIS2_EEb.num_vgpr, 15
	.set _ZN9rocsparseL23csr2csr_compress_kernelILi1024ELi16ELi64ELi64EfEEvii21rocsparse_index_base_PKT3_PKiS6_iS1_PS2_S6_PiNS_24const_host_device_scalarIS2_EEb.num_agpr, 0
	.set _ZN9rocsparseL23csr2csr_compress_kernelILi1024ELi16ELi64ELi64EfEEvii21rocsparse_index_base_PKT3_PKiS6_iS1_PS2_S6_PiNS_24const_host_device_scalarIS2_EEb.numbered_sgpr, 16
	.set _ZN9rocsparseL23csr2csr_compress_kernelILi1024ELi16ELi64ELi64EfEEvii21rocsparse_index_base_PKT3_PKiS6_iS1_PS2_S6_PiNS_24const_host_device_scalarIS2_EEb.num_named_barrier, 0
	.set _ZN9rocsparseL23csr2csr_compress_kernelILi1024ELi16ELi64ELi64EfEEvii21rocsparse_index_base_PKT3_PKiS6_iS1_PS2_S6_PiNS_24const_host_device_scalarIS2_EEb.private_seg_size, 0
	.set _ZN9rocsparseL23csr2csr_compress_kernelILi1024ELi16ELi64ELi64EfEEvii21rocsparse_index_base_PKT3_PKiS6_iS1_PS2_S6_PiNS_24const_host_device_scalarIS2_EEb.uses_vcc, 1
	.set _ZN9rocsparseL23csr2csr_compress_kernelILi1024ELi16ELi64ELi64EfEEvii21rocsparse_index_base_PKT3_PKiS6_iS1_PS2_S6_PiNS_24const_host_device_scalarIS2_EEb.uses_flat_scratch, 0
	.set _ZN9rocsparseL23csr2csr_compress_kernelILi1024ELi16ELi64ELi64EfEEvii21rocsparse_index_base_PKT3_PKiS6_iS1_PS2_S6_PiNS_24const_host_device_scalarIS2_EEb.has_dyn_sized_stack, 0
	.set _ZN9rocsparseL23csr2csr_compress_kernelILi1024ELi16ELi64ELi64EfEEvii21rocsparse_index_base_PKT3_PKiS6_iS1_PS2_S6_PiNS_24const_host_device_scalarIS2_EEb.has_recursion, 0
	.set _ZN9rocsparseL23csr2csr_compress_kernelILi1024ELi16ELi64ELi64EfEEvii21rocsparse_index_base_PKT3_PKiS6_iS1_PS2_S6_PiNS_24const_host_device_scalarIS2_EEb.has_indirect_call, 0
	.section	.AMDGPU.csdata,"",@progbits
; Kernel info:
; codeLenInByte = 548
; TotalNumSgprs: 20
; NumVgprs: 15
; ScratchSize: 0
; MemoryBound: 0
; FloatMode: 240
; IeeeMode: 1
; LDSByteSize: 0 bytes/workgroup (compile time only)
; SGPRBlocks: 2
; VGPRBlocks: 3
; NumSGPRsForWavesPerEU: 20
; NumVGPRsForWavesPerEU: 15
; Occupancy: 10
; WaveLimiterHint : 0
; COMPUTE_PGM_RSRC2:SCRATCH_EN: 0
; COMPUTE_PGM_RSRC2:USER_SGPR: 6
; COMPUTE_PGM_RSRC2:TRAP_HANDLER: 0
; COMPUTE_PGM_RSRC2:TGID_X_EN: 1
; COMPUTE_PGM_RSRC2:TGID_Y_EN: 0
; COMPUTE_PGM_RSRC2:TGID_Z_EN: 0
; COMPUTE_PGM_RSRC2:TIDIG_COMP_CNT: 0
	.section	.text._ZN9rocsparseL23csr2csr_compress_kernelILi1024ELi512ELi2ELi32EdEEvii21rocsparse_index_base_PKT3_PKiS6_iS1_PS2_S6_PiNS_24const_host_device_scalarIS2_EEb,"axG",@progbits,_ZN9rocsparseL23csr2csr_compress_kernelILi1024ELi512ELi2ELi32EdEEvii21rocsparse_index_base_PKT3_PKiS6_iS1_PS2_S6_PiNS_24const_host_device_scalarIS2_EEb,comdat
	.globl	_ZN9rocsparseL23csr2csr_compress_kernelILi1024ELi512ELi2ELi32EdEEvii21rocsparse_index_base_PKT3_PKiS6_iS1_PS2_S6_PiNS_24const_host_device_scalarIS2_EEb ; -- Begin function _ZN9rocsparseL23csr2csr_compress_kernelILi1024ELi512ELi2ELi32EdEEvii21rocsparse_index_base_PKT3_PKiS6_iS1_PS2_S6_PiNS_24const_host_device_scalarIS2_EEb
	.p2align	8
	.type	_ZN9rocsparseL23csr2csr_compress_kernelILi1024ELi512ELi2ELi32EdEEvii21rocsparse_index_base_PKT3_PKiS6_iS1_PS2_S6_PiNS_24const_host_device_scalarIS2_EEb,@function
_ZN9rocsparseL23csr2csr_compress_kernelILi1024ELi512ELi2ELi32EdEEvii21rocsparse_index_base_PKT3_PKiS6_iS1_PS2_S6_PiNS_24const_host_device_scalarIS2_EEb: ; @_ZN9rocsparseL23csr2csr_compress_kernelILi1024ELi512ELi2ELi32EdEEvii21rocsparse_index_base_PKT3_PKiS6_iS1_PS2_S6_PiNS_24const_host_device_scalarIS2_EEb
; %bb.0:
	s_load_dword s2, s[4:5], 0x50
	s_load_dwordx2 s[0:1], s[4:5], 0x48
	s_waitcnt lgkmcnt(0)
	s_bitcmp1_b32 s2, 0
	s_cselect_b64 s[2:3], -1, 0
	v_mov_b32_e32 v2, s1
	s_and_b64 vcc, exec, s[2:3]
	v_mov_b32_e32 v1, s0
	s_cbranch_vccnz .LBB13_2
; %bb.1:
	v_mov_b32_e32 v2, s1
	v_mov_b32_e32 v1, s0
	flat_load_dwordx2 v[1:2], v[1:2]
.LBB13_2:
	s_load_dword s0, s[4:5], 0x0
	v_lshrrev_b32_e32 v3, 1, v0
	v_lshl_or_b32 v3, s6, 9, v3
	s_waitcnt lgkmcnt(0)
	v_cmp_gt_i32_e32 vcc, s0, v3
	s_and_saveexec_b64 s[0:1], vcc
	s_cbranch_execz .LBB13_8
; %bb.3:
	s_load_dwordx2 s[2:3], s[4:5], 0x18
	s_load_dword s0, s[4:5], 0x8
	v_ashrrev_i32_e32 v4, 31, v3
	v_lshlrev_b64 v[4:5], 2, v[3:4]
	s_waitcnt lgkmcnt(0)
	v_mov_b32_e32 v3, s3
	v_add_co_u32_e32 v6, vcc, s2, v4
	v_addc_co_u32_e32 v7, vcc, v3, v5, vcc
	global_load_dwordx2 v[7:8], v[6:7], off
	v_and_b32_e32 v6, 1, v0
	v_subrev_u32_e32 v3, s0, v6
	s_waitcnt vmcnt(0)
	v_subrev_u32_e32 v9, s0, v8
	v_add_u32_e32 v3, v7, v3
	v_cmp_lt_i32_e32 vcc, v3, v9
	s_and_b64 exec, exec, vcc
	s_cbranch_execz .LBB13_8
; %bb.4:
	s_load_dwordx4 s[8:11], s[4:5], 0x30
	s_load_dwordx2 s[2:3], s[4:5], 0x40
	v_and_b32_e32 v0, 30, v0
	s_mov_b32 s12, 0
	s_mov_b32 s13, 0x38100000
	s_waitcnt lgkmcnt(0)
	v_mov_b32_e32 v7, s11
	v_add_co_u32_e32 v4, vcc, s10, v4
	v_addc_co_u32_e32 v5, vcc, v7, v5, vcc
	global_load_dword v7, v[4:5], off
	s_load_dwordx2 s[6:7], s[4:5], 0x10
	s_load_dwordx2 s[10:11], s[4:5], 0x20
	s_load_dword s1, s[4:5], 0x2c
	v_not_b32_e32 v4, v6
	v_mov_b32_e32 v5, 0
	v_mbcnt_lo_u32_b32 v6, -1, 0
	v_lshrrev_b32_e64 v4, v4, -1
	v_mbcnt_hi_u32_b32 v8, -1, v6
	v_lshlrev_b64 v[5:6], v0, v[4:5]
	s_mov_b64 s[4:5], 0
	v_lshl_or_b32 v0, v8, 2, 4
	s_waitcnt lgkmcnt(0)
	s_sub_i32 s14, s1, s0
	v_mov_b32_e32 v11, s7
	s_waitcnt vmcnt(0)
	v_subrev_u32_e32 v10, s1, v7
	s_branch .LBB13_6
.LBB13_5:                               ;   in Loop: Header=BB13_6 Depth=1
	s_or_b64 exec, exec, s[0:1]
	ds_bpermute_b32 v4, v0, v12
	v_add_u32_e32 v3, 2, v3
	v_cmp_ge_i32_e32 vcc, v3, v9
	s_or_b64 s[4:5], vcc, s[4:5]
	s_waitcnt lgkmcnt(0)
	v_add_u32_e32 v10, v4, v10
	s_andn2_b64 exec, exec, s[4:5]
	s_cbranch_execz .LBB13_8
.LBB13_6:                               ; =>This Inner Loop Header: Depth=1
	v_ashrrev_i32_e32 v4, 31, v3
	v_lshlrev_b64 v[7:8], 3, v[3:4]
	v_add_co_u32_e32 v7, vcc, s6, v7
	v_addc_co_u32_e32 v8, vcc, v11, v8, vcc
	global_load_dwordx2 v[7:8], v[7:8], off
	s_waitcnt vmcnt(0)
	v_cmp_gt_f64_e32 vcc, 0, v[7:8]
	v_xor_b32_e32 v13, 0x80000000, v8
	v_mov_b32_e32 v12, v7
	v_cndmask_b32_e32 v13, v8, v13, vcc
	v_cmp_gt_f64_e32 vcc, v[12:13], v[1:2]
	v_cmp_lt_f64_e64 s[0:1], s[12:13], v[12:13]
	s_and_b64 s[16:17], vcc, s[0:1]
	v_cndmask_b32_e64 v12, 0, 1, s[16:17]
	v_cmp_ne_u32_e32 vcc, 0, v12
	v_and_b32_e32 v13, vcc_lo, v5
	v_and_b32_e32 v12, vcc_hi, v6
	v_bcnt_u32_b32 v13, v13, 0
	v_bcnt_u32_b32 v12, v12, v13
	s_and_saveexec_b64 s[0:1], s[16:17]
	s_cbranch_execz .LBB13_5
; %bb.7:                                ;   in Loop: Header=BB13_6 Depth=1
	v_lshlrev_b64 v[13:14], 2, v[3:4]
	v_mov_b32_e32 v4, s11
	v_add_co_u32_e32 v13, vcc, s10, v13
	v_addc_co_u32_e32 v14, vcc, v4, v14, vcc
	global_load_dword v4, v[13:14], off
	v_ashrrev_i32_e32 v14, 31, v10
	v_add_co_u32_e32 v13, vcc, v10, v12
	v_addc_co_u32_e32 v14, vcc, 0, v14, vcc
	v_lshlrev_b64 v[15:16], 3, v[13:14]
	v_mov_b32_e32 v17, s9
	v_lshlrev_b64 v[13:14], 2, v[13:14]
	v_add_co_u32_e32 v15, vcc, s8, v15
	v_addc_co_u32_e32 v16, vcc, v17, v16, vcc
	v_mov_b32_e32 v18, s3
	global_store_dwordx2 v[15:16], v[7:8], off offset:-8
	v_add_co_u32_e32 v7, vcc, s2, v13
	v_addc_co_u32_e32 v8, vcc, v18, v14, vcc
	s_waitcnt vmcnt(1)
	v_add_u32_e32 v4, s14, v4
	global_store_dword v[7:8], v4, off offset:-4
	s_branch .LBB13_5
.LBB13_8:
	s_endpgm
	.section	.rodata,"a",@progbits
	.p2align	6, 0x0
	.amdhsa_kernel _ZN9rocsparseL23csr2csr_compress_kernelILi1024ELi512ELi2ELi32EdEEvii21rocsparse_index_base_PKT3_PKiS6_iS1_PS2_S6_PiNS_24const_host_device_scalarIS2_EEb
		.amdhsa_group_segment_fixed_size 0
		.amdhsa_private_segment_fixed_size 0
		.amdhsa_kernarg_size 84
		.amdhsa_user_sgpr_count 6
		.amdhsa_user_sgpr_private_segment_buffer 1
		.amdhsa_user_sgpr_dispatch_ptr 0
		.amdhsa_user_sgpr_queue_ptr 0
		.amdhsa_user_sgpr_kernarg_segment_ptr 1
		.amdhsa_user_sgpr_dispatch_id 0
		.amdhsa_user_sgpr_flat_scratch_init 0
		.amdhsa_user_sgpr_private_segment_size 0
		.amdhsa_uses_dynamic_stack 0
		.amdhsa_system_sgpr_private_segment_wavefront_offset 0
		.amdhsa_system_sgpr_workgroup_id_x 1
		.amdhsa_system_sgpr_workgroup_id_y 0
		.amdhsa_system_sgpr_workgroup_id_z 0
		.amdhsa_system_sgpr_workgroup_info 0
		.amdhsa_system_vgpr_workitem_id 0
		.amdhsa_next_free_vgpr 19
		.amdhsa_next_free_sgpr 18
		.amdhsa_reserve_vcc 1
		.amdhsa_reserve_flat_scratch 0
		.amdhsa_float_round_mode_32 0
		.amdhsa_float_round_mode_16_64 0
		.amdhsa_float_denorm_mode_32 3
		.amdhsa_float_denorm_mode_16_64 3
		.amdhsa_dx10_clamp 1
		.amdhsa_ieee_mode 1
		.amdhsa_fp16_overflow 0
		.amdhsa_exception_fp_ieee_invalid_op 0
		.amdhsa_exception_fp_denorm_src 0
		.amdhsa_exception_fp_ieee_div_zero 0
		.amdhsa_exception_fp_ieee_overflow 0
		.amdhsa_exception_fp_ieee_underflow 0
		.amdhsa_exception_fp_ieee_inexact 0
		.amdhsa_exception_int_div_zero 0
	.end_amdhsa_kernel
	.section	.text._ZN9rocsparseL23csr2csr_compress_kernelILi1024ELi512ELi2ELi32EdEEvii21rocsparse_index_base_PKT3_PKiS6_iS1_PS2_S6_PiNS_24const_host_device_scalarIS2_EEb,"axG",@progbits,_ZN9rocsparseL23csr2csr_compress_kernelILi1024ELi512ELi2ELi32EdEEvii21rocsparse_index_base_PKT3_PKiS6_iS1_PS2_S6_PiNS_24const_host_device_scalarIS2_EEb,comdat
.Lfunc_end13:
	.size	_ZN9rocsparseL23csr2csr_compress_kernelILi1024ELi512ELi2ELi32EdEEvii21rocsparse_index_base_PKT3_PKiS6_iS1_PS2_S6_PiNS_24const_host_device_scalarIS2_EEb, .Lfunc_end13-_ZN9rocsparseL23csr2csr_compress_kernelILi1024ELi512ELi2ELi32EdEEvii21rocsparse_index_base_PKT3_PKiS6_iS1_PS2_S6_PiNS_24const_host_device_scalarIS2_EEb
                                        ; -- End function
	.set _ZN9rocsparseL23csr2csr_compress_kernelILi1024ELi512ELi2ELi32EdEEvii21rocsparse_index_base_PKT3_PKiS6_iS1_PS2_S6_PiNS_24const_host_device_scalarIS2_EEb.num_vgpr, 19
	.set _ZN9rocsparseL23csr2csr_compress_kernelILi1024ELi512ELi2ELi32EdEEvii21rocsparse_index_base_PKT3_PKiS6_iS1_PS2_S6_PiNS_24const_host_device_scalarIS2_EEb.num_agpr, 0
	.set _ZN9rocsparseL23csr2csr_compress_kernelILi1024ELi512ELi2ELi32EdEEvii21rocsparse_index_base_PKT3_PKiS6_iS1_PS2_S6_PiNS_24const_host_device_scalarIS2_EEb.numbered_sgpr, 18
	.set _ZN9rocsparseL23csr2csr_compress_kernelILi1024ELi512ELi2ELi32EdEEvii21rocsparse_index_base_PKT3_PKiS6_iS1_PS2_S6_PiNS_24const_host_device_scalarIS2_EEb.num_named_barrier, 0
	.set _ZN9rocsparseL23csr2csr_compress_kernelILi1024ELi512ELi2ELi32EdEEvii21rocsparse_index_base_PKT3_PKiS6_iS1_PS2_S6_PiNS_24const_host_device_scalarIS2_EEb.private_seg_size, 0
	.set _ZN9rocsparseL23csr2csr_compress_kernelILi1024ELi512ELi2ELi32EdEEvii21rocsparse_index_base_PKT3_PKiS6_iS1_PS2_S6_PiNS_24const_host_device_scalarIS2_EEb.uses_vcc, 1
	.set _ZN9rocsparseL23csr2csr_compress_kernelILi1024ELi512ELi2ELi32EdEEvii21rocsparse_index_base_PKT3_PKiS6_iS1_PS2_S6_PiNS_24const_host_device_scalarIS2_EEb.uses_flat_scratch, 0
	.set _ZN9rocsparseL23csr2csr_compress_kernelILi1024ELi512ELi2ELi32EdEEvii21rocsparse_index_base_PKT3_PKiS6_iS1_PS2_S6_PiNS_24const_host_device_scalarIS2_EEb.has_dyn_sized_stack, 0
	.set _ZN9rocsparseL23csr2csr_compress_kernelILi1024ELi512ELi2ELi32EdEEvii21rocsparse_index_base_PKT3_PKiS6_iS1_PS2_S6_PiNS_24const_host_device_scalarIS2_EEb.has_recursion, 0
	.set _ZN9rocsparseL23csr2csr_compress_kernelILi1024ELi512ELi2ELi32EdEEvii21rocsparse_index_base_PKT3_PKiS6_iS1_PS2_S6_PiNS_24const_host_device_scalarIS2_EEb.has_indirect_call, 0
	.section	.AMDGPU.csdata,"",@progbits
; Kernel info:
; codeLenInByte = 600
; TotalNumSgprs: 22
; NumVgprs: 19
; ScratchSize: 0
; MemoryBound: 0
; FloatMode: 240
; IeeeMode: 1
; LDSByteSize: 0 bytes/workgroup (compile time only)
; SGPRBlocks: 2
; VGPRBlocks: 4
; NumSGPRsForWavesPerEU: 22
; NumVGPRsForWavesPerEU: 19
; Occupancy: 10
; WaveLimiterHint : 0
; COMPUTE_PGM_RSRC2:SCRATCH_EN: 0
; COMPUTE_PGM_RSRC2:USER_SGPR: 6
; COMPUTE_PGM_RSRC2:TRAP_HANDLER: 0
; COMPUTE_PGM_RSRC2:TGID_X_EN: 1
; COMPUTE_PGM_RSRC2:TGID_Y_EN: 0
; COMPUTE_PGM_RSRC2:TGID_Z_EN: 0
; COMPUTE_PGM_RSRC2:TIDIG_COMP_CNT: 0
	.section	.text._ZN9rocsparseL23csr2csr_compress_kernelILi1024ELi256ELi4ELi32EdEEvii21rocsparse_index_base_PKT3_PKiS6_iS1_PS2_S6_PiNS_24const_host_device_scalarIS2_EEb,"axG",@progbits,_ZN9rocsparseL23csr2csr_compress_kernelILi1024ELi256ELi4ELi32EdEEvii21rocsparse_index_base_PKT3_PKiS6_iS1_PS2_S6_PiNS_24const_host_device_scalarIS2_EEb,comdat
	.globl	_ZN9rocsparseL23csr2csr_compress_kernelILi1024ELi256ELi4ELi32EdEEvii21rocsparse_index_base_PKT3_PKiS6_iS1_PS2_S6_PiNS_24const_host_device_scalarIS2_EEb ; -- Begin function _ZN9rocsparseL23csr2csr_compress_kernelILi1024ELi256ELi4ELi32EdEEvii21rocsparse_index_base_PKT3_PKiS6_iS1_PS2_S6_PiNS_24const_host_device_scalarIS2_EEb
	.p2align	8
	.type	_ZN9rocsparseL23csr2csr_compress_kernelILi1024ELi256ELi4ELi32EdEEvii21rocsparse_index_base_PKT3_PKiS6_iS1_PS2_S6_PiNS_24const_host_device_scalarIS2_EEb,@function
_ZN9rocsparseL23csr2csr_compress_kernelILi1024ELi256ELi4ELi32EdEEvii21rocsparse_index_base_PKT3_PKiS6_iS1_PS2_S6_PiNS_24const_host_device_scalarIS2_EEb: ; @_ZN9rocsparseL23csr2csr_compress_kernelILi1024ELi256ELi4ELi32EdEEvii21rocsparse_index_base_PKT3_PKiS6_iS1_PS2_S6_PiNS_24const_host_device_scalarIS2_EEb
; %bb.0:
	s_load_dword s2, s[4:5], 0x50
	s_load_dwordx2 s[0:1], s[4:5], 0x48
	s_waitcnt lgkmcnt(0)
	s_bitcmp1_b32 s2, 0
	s_cselect_b64 s[2:3], -1, 0
	v_mov_b32_e32 v2, s1
	s_and_b64 vcc, exec, s[2:3]
	v_mov_b32_e32 v1, s0
	s_cbranch_vccnz .LBB14_2
; %bb.1:
	v_mov_b32_e32 v2, s1
	v_mov_b32_e32 v1, s0
	flat_load_dwordx2 v[1:2], v[1:2]
.LBB14_2:
	s_load_dword s0, s[4:5], 0x0
	v_lshrrev_b32_e32 v3, 2, v0
	v_lshl_or_b32 v3, s6, 8, v3
	s_waitcnt lgkmcnt(0)
	v_cmp_gt_i32_e32 vcc, s0, v3
	s_and_saveexec_b64 s[0:1], vcc
	s_cbranch_execz .LBB14_8
; %bb.3:
	s_load_dwordx2 s[2:3], s[4:5], 0x18
	s_load_dword s0, s[4:5], 0x8
	v_ashrrev_i32_e32 v4, 31, v3
	v_lshlrev_b64 v[4:5], 2, v[3:4]
	s_waitcnt lgkmcnt(0)
	v_mov_b32_e32 v3, s3
	v_add_co_u32_e32 v6, vcc, s2, v4
	v_addc_co_u32_e32 v7, vcc, v3, v5, vcc
	global_load_dwordx2 v[7:8], v[6:7], off
	v_and_b32_e32 v6, 3, v0
	v_subrev_u32_e32 v3, s0, v6
	s_waitcnt vmcnt(0)
	v_subrev_u32_e32 v9, s0, v8
	v_add_u32_e32 v3, v7, v3
	v_cmp_lt_i32_e32 vcc, v3, v9
	s_and_b64 exec, exec, vcc
	s_cbranch_execz .LBB14_8
; %bb.4:
	s_load_dwordx4 s[8:11], s[4:5], 0x30
	s_load_dwordx2 s[2:3], s[4:5], 0x40
	v_and_b32_e32 v0, 28, v0
	s_mov_b32 s12, 0
	s_mov_b32 s13, 0x38100000
	s_waitcnt lgkmcnt(0)
	v_mov_b32_e32 v7, s11
	v_add_co_u32_e32 v4, vcc, s10, v4
	v_addc_co_u32_e32 v5, vcc, v7, v5, vcc
	global_load_dword v7, v[4:5], off
	s_load_dwordx2 s[6:7], s[4:5], 0x10
	s_load_dwordx2 s[10:11], s[4:5], 0x20
	s_load_dword s1, s[4:5], 0x2c
	v_not_b32_e32 v4, v6
	v_mov_b32_e32 v5, 0
	v_mbcnt_lo_u32_b32 v6, -1, 0
	v_lshrrev_b32_e64 v4, v4, -1
	v_mbcnt_hi_u32_b32 v8, -1, v6
	v_lshlrev_b64 v[5:6], v0, v[4:5]
	s_mov_b64 s[4:5], 0
	v_lshl_or_b32 v0, v8, 2, 12
	s_waitcnt lgkmcnt(0)
	s_sub_i32 s14, s1, s0
	v_mov_b32_e32 v11, s7
	s_waitcnt vmcnt(0)
	v_subrev_u32_e32 v10, s1, v7
	s_branch .LBB14_6
.LBB14_5:                               ;   in Loop: Header=BB14_6 Depth=1
	s_or_b64 exec, exec, s[0:1]
	ds_bpermute_b32 v4, v0, v12
	v_add_u32_e32 v3, 4, v3
	v_cmp_ge_i32_e32 vcc, v3, v9
	s_or_b64 s[4:5], vcc, s[4:5]
	s_waitcnt lgkmcnt(0)
	v_add_u32_e32 v10, v4, v10
	s_andn2_b64 exec, exec, s[4:5]
	s_cbranch_execz .LBB14_8
.LBB14_6:                               ; =>This Inner Loop Header: Depth=1
	v_ashrrev_i32_e32 v4, 31, v3
	v_lshlrev_b64 v[7:8], 3, v[3:4]
	v_add_co_u32_e32 v7, vcc, s6, v7
	v_addc_co_u32_e32 v8, vcc, v11, v8, vcc
	global_load_dwordx2 v[7:8], v[7:8], off
	s_waitcnt vmcnt(0)
	v_cmp_gt_f64_e32 vcc, 0, v[7:8]
	v_xor_b32_e32 v13, 0x80000000, v8
	v_mov_b32_e32 v12, v7
	v_cndmask_b32_e32 v13, v8, v13, vcc
	v_cmp_gt_f64_e32 vcc, v[12:13], v[1:2]
	v_cmp_lt_f64_e64 s[0:1], s[12:13], v[12:13]
	s_and_b64 s[16:17], vcc, s[0:1]
	v_cndmask_b32_e64 v12, 0, 1, s[16:17]
	v_cmp_ne_u32_e32 vcc, 0, v12
	v_and_b32_e32 v13, vcc_lo, v5
	v_and_b32_e32 v12, vcc_hi, v6
	v_bcnt_u32_b32 v13, v13, 0
	v_bcnt_u32_b32 v12, v12, v13
	s_and_saveexec_b64 s[0:1], s[16:17]
	s_cbranch_execz .LBB14_5
; %bb.7:                                ;   in Loop: Header=BB14_6 Depth=1
	v_lshlrev_b64 v[13:14], 2, v[3:4]
	v_mov_b32_e32 v4, s11
	v_add_co_u32_e32 v13, vcc, s10, v13
	v_addc_co_u32_e32 v14, vcc, v4, v14, vcc
	global_load_dword v4, v[13:14], off
	v_ashrrev_i32_e32 v14, 31, v10
	v_add_co_u32_e32 v13, vcc, v10, v12
	v_addc_co_u32_e32 v14, vcc, 0, v14, vcc
	v_lshlrev_b64 v[15:16], 3, v[13:14]
	v_mov_b32_e32 v17, s9
	v_lshlrev_b64 v[13:14], 2, v[13:14]
	v_add_co_u32_e32 v15, vcc, s8, v15
	v_addc_co_u32_e32 v16, vcc, v17, v16, vcc
	v_mov_b32_e32 v18, s3
	global_store_dwordx2 v[15:16], v[7:8], off offset:-8
	v_add_co_u32_e32 v7, vcc, s2, v13
	v_addc_co_u32_e32 v8, vcc, v18, v14, vcc
	s_waitcnt vmcnt(1)
	v_add_u32_e32 v4, s14, v4
	global_store_dword v[7:8], v4, off offset:-4
	s_branch .LBB14_5
.LBB14_8:
	s_endpgm
	.section	.rodata,"a",@progbits
	.p2align	6, 0x0
	.amdhsa_kernel _ZN9rocsparseL23csr2csr_compress_kernelILi1024ELi256ELi4ELi32EdEEvii21rocsparse_index_base_PKT3_PKiS6_iS1_PS2_S6_PiNS_24const_host_device_scalarIS2_EEb
		.amdhsa_group_segment_fixed_size 0
		.amdhsa_private_segment_fixed_size 0
		.amdhsa_kernarg_size 84
		.amdhsa_user_sgpr_count 6
		.amdhsa_user_sgpr_private_segment_buffer 1
		.amdhsa_user_sgpr_dispatch_ptr 0
		.amdhsa_user_sgpr_queue_ptr 0
		.amdhsa_user_sgpr_kernarg_segment_ptr 1
		.amdhsa_user_sgpr_dispatch_id 0
		.amdhsa_user_sgpr_flat_scratch_init 0
		.amdhsa_user_sgpr_private_segment_size 0
		.amdhsa_uses_dynamic_stack 0
		.amdhsa_system_sgpr_private_segment_wavefront_offset 0
		.amdhsa_system_sgpr_workgroup_id_x 1
		.amdhsa_system_sgpr_workgroup_id_y 0
		.amdhsa_system_sgpr_workgroup_id_z 0
		.amdhsa_system_sgpr_workgroup_info 0
		.amdhsa_system_vgpr_workitem_id 0
		.amdhsa_next_free_vgpr 19
		.amdhsa_next_free_sgpr 18
		.amdhsa_reserve_vcc 1
		.amdhsa_reserve_flat_scratch 0
		.amdhsa_float_round_mode_32 0
		.amdhsa_float_round_mode_16_64 0
		.amdhsa_float_denorm_mode_32 3
		.amdhsa_float_denorm_mode_16_64 3
		.amdhsa_dx10_clamp 1
		.amdhsa_ieee_mode 1
		.amdhsa_fp16_overflow 0
		.amdhsa_exception_fp_ieee_invalid_op 0
		.amdhsa_exception_fp_denorm_src 0
		.amdhsa_exception_fp_ieee_div_zero 0
		.amdhsa_exception_fp_ieee_overflow 0
		.amdhsa_exception_fp_ieee_underflow 0
		.amdhsa_exception_fp_ieee_inexact 0
		.amdhsa_exception_int_div_zero 0
	.end_amdhsa_kernel
	.section	.text._ZN9rocsparseL23csr2csr_compress_kernelILi1024ELi256ELi4ELi32EdEEvii21rocsparse_index_base_PKT3_PKiS6_iS1_PS2_S6_PiNS_24const_host_device_scalarIS2_EEb,"axG",@progbits,_ZN9rocsparseL23csr2csr_compress_kernelILi1024ELi256ELi4ELi32EdEEvii21rocsparse_index_base_PKT3_PKiS6_iS1_PS2_S6_PiNS_24const_host_device_scalarIS2_EEb,comdat
.Lfunc_end14:
	.size	_ZN9rocsparseL23csr2csr_compress_kernelILi1024ELi256ELi4ELi32EdEEvii21rocsparse_index_base_PKT3_PKiS6_iS1_PS2_S6_PiNS_24const_host_device_scalarIS2_EEb, .Lfunc_end14-_ZN9rocsparseL23csr2csr_compress_kernelILi1024ELi256ELi4ELi32EdEEvii21rocsparse_index_base_PKT3_PKiS6_iS1_PS2_S6_PiNS_24const_host_device_scalarIS2_EEb
                                        ; -- End function
	.set _ZN9rocsparseL23csr2csr_compress_kernelILi1024ELi256ELi4ELi32EdEEvii21rocsparse_index_base_PKT3_PKiS6_iS1_PS2_S6_PiNS_24const_host_device_scalarIS2_EEb.num_vgpr, 19
	.set _ZN9rocsparseL23csr2csr_compress_kernelILi1024ELi256ELi4ELi32EdEEvii21rocsparse_index_base_PKT3_PKiS6_iS1_PS2_S6_PiNS_24const_host_device_scalarIS2_EEb.num_agpr, 0
	.set _ZN9rocsparseL23csr2csr_compress_kernelILi1024ELi256ELi4ELi32EdEEvii21rocsparse_index_base_PKT3_PKiS6_iS1_PS2_S6_PiNS_24const_host_device_scalarIS2_EEb.numbered_sgpr, 18
	.set _ZN9rocsparseL23csr2csr_compress_kernelILi1024ELi256ELi4ELi32EdEEvii21rocsparse_index_base_PKT3_PKiS6_iS1_PS2_S6_PiNS_24const_host_device_scalarIS2_EEb.num_named_barrier, 0
	.set _ZN9rocsparseL23csr2csr_compress_kernelILi1024ELi256ELi4ELi32EdEEvii21rocsparse_index_base_PKT3_PKiS6_iS1_PS2_S6_PiNS_24const_host_device_scalarIS2_EEb.private_seg_size, 0
	.set _ZN9rocsparseL23csr2csr_compress_kernelILi1024ELi256ELi4ELi32EdEEvii21rocsparse_index_base_PKT3_PKiS6_iS1_PS2_S6_PiNS_24const_host_device_scalarIS2_EEb.uses_vcc, 1
	.set _ZN9rocsparseL23csr2csr_compress_kernelILi1024ELi256ELi4ELi32EdEEvii21rocsparse_index_base_PKT3_PKiS6_iS1_PS2_S6_PiNS_24const_host_device_scalarIS2_EEb.uses_flat_scratch, 0
	.set _ZN9rocsparseL23csr2csr_compress_kernelILi1024ELi256ELi4ELi32EdEEvii21rocsparse_index_base_PKT3_PKiS6_iS1_PS2_S6_PiNS_24const_host_device_scalarIS2_EEb.has_dyn_sized_stack, 0
	.set _ZN9rocsparseL23csr2csr_compress_kernelILi1024ELi256ELi4ELi32EdEEvii21rocsparse_index_base_PKT3_PKiS6_iS1_PS2_S6_PiNS_24const_host_device_scalarIS2_EEb.has_recursion, 0
	.set _ZN9rocsparseL23csr2csr_compress_kernelILi1024ELi256ELi4ELi32EdEEvii21rocsparse_index_base_PKT3_PKiS6_iS1_PS2_S6_PiNS_24const_host_device_scalarIS2_EEb.has_indirect_call, 0
	.section	.AMDGPU.csdata,"",@progbits
; Kernel info:
; codeLenInByte = 600
; TotalNumSgprs: 22
; NumVgprs: 19
; ScratchSize: 0
; MemoryBound: 0
; FloatMode: 240
; IeeeMode: 1
; LDSByteSize: 0 bytes/workgroup (compile time only)
; SGPRBlocks: 2
; VGPRBlocks: 4
; NumSGPRsForWavesPerEU: 22
; NumVGPRsForWavesPerEU: 19
; Occupancy: 10
; WaveLimiterHint : 0
; COMPUTE_PGM_RSRC2:SCRATCH_EN: 0
; COMPUTE_PGM_RSRC2:USER_SGPR: 6
; COMPUTE_PGM_RSRC2:TRAP_HANDLER: 0
; COMPUTE_PGM_RSRC2:TGID_X_EN: 1
; COMPUTE_PGM_RSRC2:TGID_Y_EN: 0
; COMPUTE_PGM_RSRC2:TGID_Z_EN: 0
; COMPUTE_PGM_RSRC2:TIDIG_COMP_CNT: 0
	.section	.text._ZN9rocsparseL23csr2csr_compress_kernelILi1024ELi128ELi8ELi32EdEEvii21rocsparse_index_base_PKT3_PKiS6_iS1_PS2_S6_PiNS_24const_host_device_scalarIS2_EEb,"axG",@progbits,_ZN9rocsparseL23csr2csr_compress_kernelILi1024ELi128ELi8ELi32EdEEvii21rocsparse_index_base_PKT3_PKiS6_iS1_PS2_S6_PiNS_24const_host_device_scalarIS2_EEb,comdat
	.globl	_ZN9rocsparseL23csr2csr_compress_kernelILi1024ELi128ELi8ELi32EdEEvii21rocsparse_index_base_PKT3_PKiS6_iS1_PS2_S6_PiNS_24const_host_device_scalarIS2_EEb ; -- Begin function _ZN9rocsparseL23csr2csr_compress_kernelILi1024ELi128ELi8ELi32EdEEvii21rocsparse_index_base_PKT3_PKiS6_iS1_PS2_S6_PiNS_24const_host_device_scalarIS2_EEb
	.p2align	8
	.type	_ZN9rocsparseL23csr2csr_compress_kernelILi1024ELi128ELi8ELi32EdEEvii21rocsparse_index_base_PKT3_PKiS6_iS1_PS2_S6_PiNS_24const_host_device_scalarIS2_EEb,@function
_ZN9rocsparseL23csr2csr_compress_kernelILi1024ELi128ELi8ELi32EdEEvii21rocsparse_index_base_PKT3_PKiS6_iS1_PS2_S6_PiNS_24const_host_device_scalarIS2_EEb: ; @_ZN9rocsparseL23csr2csr_compress_kernelILi1024ELi128ELi8ELi32EdEEvii21rocsparse_index_base_PKT3_PKiS6_iS1_PS2_S6_PiNS_24const_host_device_scalarIS2_EEb
; %bb.0:
	s_load_dword s2, s[4:5], 0x50
	s_load_dwordx2 s[0:1], s[4:5], 0x48
	s_waitcnt lgkmcnt(0)
	s_bitcmp1_b32 s2, 0
	s_cselect_b64 s[2:3], -1, 0
	v_mov_b32_e32 v2, s1
	s_and_b64 vcc, exec, s[2:3]
	v_mov_b32_e32 v1, s0
	s_cbranch_vccnz .LBB15_2
; %bb.1:
	v_mov_b32_e32 v2, s1
	v_mov_b32_e32 v1, s0
	flat_load_dwordx2 v[1:2], v[1:2]
.LBB15_2:
	s_load_dword s0, s[4:5], 0x0
	v_lshrrev_b32_e32 v3, 3, v0
	v_lshl_or_b32 v3, s6, 7, v3
	s_waitcnt lgkmcnt(0)
	v_cmp_gt_i32_e32 vcc, s0, v3
	s_and_saveexec_b64 s[0:1], vcc
	s_cbranch_execz .LBB15_8
; %bb.3:
	s_load_dwordx2 s[2:3], s[4:5], 0x18
	s_load_dword s0, s[4:5], 0x8
	v_ashrrev_i32_e32 v4, 31, v3
	v_lshlrev_b64 v[4:5], 2, v[3:4]
	s_waitcnt lgkmcnt(0)
	v_mov_b32_e32 v3, s3
	v_add_co_u32_e32 v6, vcc, s2, v4
	v_addc_co_u32_e32 v7, vcc, v3, v5, vcc
	global_load_dwordx2 v[7:8], v[6:7], off
	v_and_b32_e32 v6, 7, v0
	v_subrev_u32_e32 v3, s0, v6
	s_waitcnt vmcnt(0)
	v_subrev_u32_e32 v9, s0, v8
	v_add_u32_e32 v3, v7, v3
	v_cmp_lt_i32_e32 vcc, v3, v9
	s_and_b64 exec, exec, vcc
	s_cbranch_execz .LBB15_8
; %bb.4:
	s_load_dwordx4 s[8:11], s[4:5], 0x30
	s_load_dwordx2 s[2:3], s[4:5], 0x40
	v_and_b32_e32 v0, 24, v0
	s_mov_b32 s12, 0
	s_mov_b32 s13, 0x38100000
	s_waitcnt lgkmcnt(0)
	v_mov_b32_e32 v7, s11
	v_add_co_u32_e32 v4, vcc, s10, v4
	v_addc_co_u32_e32 v5, vcc, v7, v5, vcc
	global_load_dword v7, v[4:5], off
	s_load_dwordx2 s[6:7], s[4:5], 0x10
	s_load_dwordx2 s[10:11], s[4:5], 0x20
	s_load_dword s1, s[4:5], 0x2c
	v_not_b32_e32 v4, v6
	v_mov_b32_e32 v5, 0
	v_mbcnt_lo_u32_b32 v6, -1, 0
	v_lshrrev_b32_e64 v4, v4, -1
	v_mbcnt_hi_u32_b32 v8, -1, v6
	v_lshlrev_b64 v[5:6], v0, v[4:5]
	s_mov_b64 s[4:5], 0
	v_lshl_or_b32 v0, v8, 2, 28
	s_waitcnt lgkmcnt(0)
	s_sub_i32 s14, s1, s0
	v_mov_b32_e32 v11, s7
	s_waitcnt vmcnt(0)
	v_subrev_u32_e32 v10, s1, v7
	s_branch .LBB15_6
.LBB15_5:                               ;   in Loop: Header=BB15_6 Depth=1
	s_or_b64 exec, exec, s[0:1]
	ds_bpermute_b32 v4, v0, v12
	v_add_u32_e32 v3, 8, v3
	v_cmp_ge_i32_e32 vcc, v3, v9
	s_or_b64 s[4:5], vcc, s[4:5]
	s_waitcnt lgkmcnt(0)
	v_add_u32_e32 v10, v4, v10
	s_andn2_b64 exec, exec, s[4:5]
	s_cbranch_execz .LBB15_8
.LBB15_6:                               ; =>This Inner Loop Header: Depth=1
	v_ashrrev_i32_e32 v4, 31, v3
	v_lshlrev_b64 v[7:8], 3, v[3:4]
	v_add_co_u32_e32 v7, vcc, s6, v7
	v_addc_co_u32_e32 v8, vcc, v11, v8, vcc
	global_load_dwordx2 v[7:8], v[7:8], off
	s_waitcnt vmcnt(0)
	v_cmp_gt_f64_e32 vcc, 0, v[7:8]
	v_xor_b32_e32 v13, 0x80000000, v8
	v_mov_b32_e32 v12, v7
	v_cndmask_b32_e32 v13, v8, v13, vcc
	v_cmp_gt_f64_e32 vcc, v[12:13], v[1:2]
	v_cmp_lt_f64_e64 s[0:1], s[12:13], v[12:13]
	s_and_b64 s[16:17], vcc, s[0:1]
	v_cndmask_b32_e64 v12, 0, 1, s[16:17]
	v_cmp_ne_u32_e32 vcc, 0, v12
	v_and_b32_e32 v13, vcc_lo, v5
	v_and_b32_e32 v12, vcc_hi, v6
	v_bcnt_u32_b32 v13, v13, 0
	v_bcnt_u32_b32 v12, v12, v13
	s_and_saveexec_b64 s[0:1], s[16:17]
	s_cbranch_execz .LBB15_5
; %bb.7:                                ;   in Loop: Header=BB15_6 Depth=1
	v_lshlrev_b64 v[13:14], 2, v[3:4]
	v_mov_b32_e32 v4, s11
	v_add_co_u32_e32 v13, vcc, s10, v13
	v_addc_co_u32_e32 v14, vcc, v4, v14, vcc
	global_load_dword v4, v[13:14], off
	v_ashrrev_i32_e32 v14, 31, v10
	v_add_co_u32_e32 v13, vcc, v10, v12
	v_addc_co_u32_e32 v14, vcc, 0, v14, vcc
	v_lshlrev_b64 v[15:16], 3, v[13:14]
	v_mov_b32_e32 v17, s9
	v_lshlrev_b64 v[13:14], 2, v[13:14]
	v_add_co_u32_e32 v15, vcc, s8, v15
	v_addc_co_u32_e32 v16, vcc, v17, v16, vcc
	v_mov_b32_e32 v18, s3
	global_store_dwordx2 v[15:16], v[7:8], off offset:-8
	v_add_co_u32_e32 v7, vcc, s2, v13
	v_addc_co_u32_e32 v8, vcc, v18, v14, vcc
	s_waitcnt vmcnt(1)
	v_add_u32_e32 v4, s14, v4
	global_store_dword v[7:8], v4, off offset:-4
	s_branch .LBB15_5
.LBB15_8:
	s_endpgm
	.section	.rodata,"a",@progbits
	.p2align	6, 0x0
	.amdhsa_kernel _ZN9rocsparseL23csr2csr_compress_kernelILi1024ELi128ELi8ELi32EdEEvii21rocsparse_index_base_PKT3_PKiS6_iS1_PS2_S6_PiNS_24const_host_device_scalarIS2_EEb
		.amdhsa_group_segment_fixed_size 0
		.amdhsa_private_segment_fixed_size 0
		.amdhsa_kernarg_size 84
		.amdhsa_user_sgpr_count 6
		.amdhsa_user_sgpr_private_segment_buffer 1
		.amdhsa_user_sgpr_dispatch_ptr 0
		.amdhsa_user_sgpr_queue_ptr 0
		.amdhsa_user_sgpr_kernarg_segment_ptr 1
		.amdhsa_user_sgpr_dispatch_id 0
		.amdhsa_user_sgpr_flat_scratch_init 0
		.amdhsa_user_sgpr_private_segment_size 0
		.amdhsa_uses_dynamic_stack 0
		.amdhsa_system_sgpr_private_segment_wavefront_offset 0
		.amdhsa_system_sgpr_workgroup_id_x 1
		.amdhsa_system_sgpr_workgroup_id_y 0
		.amdhsa_system_sgpr_workgroup_id_z 0
		.amdhsa_system_sgpr_workgroup_info 0
		.amdhsa_system_vgpr_workitem_id 0
		.amdhsa_next_free_vgpr 19
		.amdhsa_next_free_sgpr 18
		.amdhsa_reserve_vcc 1
		.amdhsa_reserve_flat_scratch 0
		.amdhsa_float_round_mode_32 0
		.amdhsa_float_round_mode_16_64 0
		.amdhsa_float_denorm_mode_32 3
		.amdhsa_float_denorm_mode_16_64 3
		.amdhsa_dx10_clamp 1
		.amdhsa_ieee_mode 1
		.amdhsa_fp16_overflow 0
		.amdhsa_exception_fp_ieee_invalid_op 0
		.amdhsa_exception_fp_denorm_src 0
		.amdhsa_exception_fp_ieee_div_zero 0
		.amdhsa_exception_fp_ieee_overflow 0
		.amdhsa_exception_fp_ieee_underflow 0
		.amdhsa_exception_fp_ieee_inexact 0
		.amdhsa_exception_int_div_zero 0
	.end_amdhsa_kernel
	.section	.text._ZN9rocsparseL23csr2csr_compress_kernelILi1024ELi128ELi8ELi32EdEEvii21rocsparse_index_base_PKT3_PKiS6_iS1_PS2_S6_PiNS_24const_host_device_scalarIS2_EEb,"axG",@progbits,_ZN9rocsparseL23csr2csr_compress_kernelILi1024ELi128ELi8ELi32EdEEvii21rocsparse_index_base_PKT3_PKiS6_iS1_PS2_S6_PiNS_24const_host_device_scalarIS2_EEb,comdat
.Lfunc_end15:
	.size	_ZN9rocsparseL23csr2csr_compress_kernelILi1024ELi128ELi8ELi32EdEEvii21rocsparse_index_base_PKT3_PKiS6_iS1_PS2_S6_PiNS_24const_host_device_scalarIS2_EEb, .Lfunc_end15-_ZN9rocsparseL23csr2csr_compress_kernelILi1024ELi128ELi8ELi32EdEEvii21rocsparse_index_base_PKT3_PKiS6_iS1_PS2_S6_PiNS_24const_host_device_scalarIS2_EEb
                                        ; -- End function
	.set _ZN9rocsparseL23csr2csr_compress_kernelILi1024ELi128ELi8ELi32EdEEvii21rocsparse_index_base_PKT3_PKiS6_iS1_PS2_S6_PiNS_24const_host_device_scalarIS2_EEb.num_vgpr, 19
	.set _ZN9rocsparseL23csr2csr_compress_kernelILi1024ELi128ELi8ELi32EdEEvii21rocsparse_index_base_PKT3_PKiS6_iS1_PS2_S6_PiNS_24const_host_device_scalarIS2_EEb.num_agpr, 0
	.set _ZN9rocsparseL23csr2csr_compress_kernelILi1024ELi128ELi8ELi32EdEEvii21rocsparse_index_base_PKT3_PKiS6_iS1_PS2_S6_PiNS_24const_host_device_scalarIS2_EEb.numbered_sgpr, 18
	.set _ZN9rocsparseL23csr2csr_compress_kernelILi1024ELi128ELi8ELi32EdEEvii21rocsparse_index_base_PKT3_PKiS6_iS1_PS2_S6_PiNS_24const_host_device_scalarIS2_EEb.num_named_barrier, 0
	.set _ZN9rocsparseL23csr2csr_compress_kernelILi1024ELi128ELi8ELi32EdEEvii21rocsparse_index_base_PKT3_PKiS6_iS1_PS2_S6_PiNS_24const_host_device_scalarIS2_EEb.private_seg_size, 0
	.set _ZN9rocsparseL23csr2csr_compress_kernelILi1024ELi128ELi8ELi32EdEEvii21rocsparse_index_base_PKT3_PKiS6_iS1_PS2_S6_PiNS_24const_host_device_scalarIS2_EEb.uses_vcc, 1
	.set _ZN9rocsparseL23csr2csr_compress_kernelILi1024ELi128ELi8ELi32EdEEvii21rocsparse_index_base_PKT3_PKiS6_iS1_PS2_S6_PiNS_24const_host_device_scalarIS2_EEb.uses_flat_scratch, 0
	.set _ZN9rocsparseL23csr2csr_compress_kernelILi1024ELi128ELi8ELi32EdEEvii21rocsparse_index_base_PKT3_PKiS6_iS1_PS2_S6_PiNS_24const_host_device_scalarIS2_EEb.has_dyn_sized_stack, 0
	.set _ZN9rocsparseL23csr2csr_compress_kernelILi1024ELi128ELi8ELi32EdEEvii21rocsparse_index_base_PKT3_PKiS6_iS1_PS2_S6_PiNS_24const_host_device_scalarIS2_EEb.has_recursion, 0
	.set _ZN9rocsparseL23csr2csr_compress_kernelILi1024ELi128ELi8ELi32EdEEvii21rocsparse_index_base_PKT3_PKiS6_iS1_PS2_S6_PiNS_24const_host_device_scalarIS2_EEb.has_indirect_call, 0
	.section	.AMDGPU.csdata,"",@progbits
; Kernel info:
; codeLenInByte = 600
; TotalNumSgprs: 22
; NumVgprs: 19
; ScratchSize: 0
; MemoryBound: 0
; FloatMode: 240
; IeeeMode: 1
; LDSByteSize: 0 bytes/workgroup (compile time only)
; SGPRBlocks: 2
; VGPRBlocks: 4
; NumSGPRsForWavesPerEU: 22
; NumVGPRsForWavesPerEU: 19
; Occupancy: 10
; WaveLimiterHint : 0
; COMPUTE_PGM_RSRC2:SCRATCH_EN: 0
; COMPUTE_PGM_RSRC2:USER_SGPR: 6
; COMPUTE_PGM_RSRC2:TRAP_HANDLER: 0
; COMPUTE_PGM_RSRC2:TGID_X_EN: 1
; COMPUTE_PGM_RSRC2:TGID_Y_EN: 0
; COMPUTE_PGM_RSRC2:TGID_Z_EN: 0
; COMPUTE_PGM_RSRC2:TIDIG_COMP_CNT: 0
	.section	.text._ZN9rocsparseL23csr2csr_compress_kernelILi1024ELi64ELi16ELi32EdEEvii21rocsparse_index_base_PKT3_PKiS6_iS1_PS2_S6_PiNS_24const_host_device_scalarIS2_EEb,"axG",@progbits,_ZN9rocsparseL23csr2csr_compress_kernelILi1024ELi64ELi16ELi32EdEEvii21rocsparse_index_base_PKT3_PKiS6_iS1_PS2_S6_PiNS_24const_host_device_scalarIS2_EEb,comdat
	.globl	_ZN9rocsparseL23csr2csr_compress_kernelILi1024ELi64ELi16ELi32EdEEvii21rocsparse_index_base_PKT3_PKiS6_iS1_PS2_S6_PiNS_24const_host_device_scalarIS2_EEb ; -- Begin function _ZN9rocsparseL23csr2csr_compress_kernelILi1024ELi64ELi16ELi32EdEEvii21rocsparse_index_base_PKT3_PKiS6_iS1_PS2_S6_PiNS_24const_host_device_scalarIS2_EEb
	.p2align	8
	.type	_ZN9rocsparseL23csr2csr_compress_kernelILi1024ELi64ELi16ELi32EdEEvii21rocsparse_index_base_PKT3_PKiS6_iS1_PS2_S6_PiNS_24const_host_device_scalarIS2_EEb,@function
_ZN9rocsparseL23csr2csr_compress_kernelILi1024ELi64ELi16ELi32EdEEvii21rocsparse_index_base_PKT3_PKiS6_iS1_PS2_S6_PiNS_24const_host_device_scalarIS2_EEb: ; @_ZN9rocsparseL23csr2csr_compress_kernelILi1024ELi64ELi16ELi32EdEEvii21rocsparse_index_base_PKT3_PKiS6_iS1_PS2_S6_PiNS_24const_host_device_scalarIS2_EEb
; %bb.0:
	s_load_dword s2, s[4:5], 0x50
	s_load_dwordx2 s[0:1], s[4:5], 0x48
	s_waitcnt lgkmcnt(0)
	s_bitcmp1_b32 s2, 0
	s_cselect_b64 s[2:3], -1, 0
	v_mov_b32_e32 v2, s1
	s_and_b64 vcc, exec, s[2:3]
	v_mov_b32_e32 v1, s0
	s_cbranch_vccnz .LBB16_2
; %bb.1:
	v_mov_b32_e32 v2, s1
	v_mov_b32_e32 v1, s0
	flat_load_dwordx2 v[1:2], v[1:2]
.LBB16_2:
	s_load_dword s0, s[4:5], 0x0
	v_lshrrev_b32_e32 v3, 4, v0
	v_lshl_or_b32 v3, s6, 6, v3
	s_waitcnt lgkmcnt(0)
	v_cmp_gt_i32_e32 vcc, s0, v3
	s_and_saveexec_b64 s[0:1], vcc
	s_cbranch_execz .LBB16_8
; %bb.3:
	s_load_dwordx2 s[2:3], s[4:5], 0x18
	s_load_dword s0, s[4:5], 0x8
	v_ashrrev_i32_e32 v4, 31, v3
	v_lshlrev_b64 v[4:5], 2, v[3:4]
	s_waitcnt lgkmcnt(0)
	v_mov_b32_e32 v3, s3
	v_add_co_u32_e32 v6, vcc, s2, v4
	v_addc_co_u32_e32 v7, vcc, v3, v5, vcc
	global_load_dwordx2 v[7:8], v[6:7], off
	v_and_b32_e32 v6, 15, v0
	v_subrev_u32_e32 v3, s0, v6
	s_waitcnt vmcnt(0)
	v_subrev_u32_e32 v9, s0, v8
	v_add_u32_e32 v3, v7, v3
	v_cmp_lt_i32_e32 vcc, v3, v9
	s_and_b64 exec, exec, vcc
	s_cbranch_execz .LBB16_8
; %bb.4:
	s_load_dwordx4 s[8:11], s[4:5], 0x30
	s_load_dwordx2 s[2:3], s[4:5], 0x40
	v_and_b32_e32 v0, 16, v0
	s_mov_b32 s12, 0
	s_mov_b32 s13, 0x38100000
	s_waitcnt lgkmcnt(0)
	v_mov_b32_e32 v7, s11
	v_add_co_u32_e32 v4, vcc, s10, v4
	v_addc_co_u32_e32 v5, vcc, v7, v5, vcc
	global_load_dword v7, v[4:5], off
	s_load_dwordx2 s[6:7], s[4:5], 0x10
	s_load_dwordx2 s[10:11], s[4:5], 0x20
	s_load_dword s1, s[4:5], 0x2c
	v_not_b32_e32 v4, v6
	v_mov_b32_e32 v5, 0
	v_mbcnt_lo_u32_b32 v6, -1, 0
	v_lshrrev_b32_e64 v4, v4, -1
	v_mbcnt_hi_u32_b32 v8, -1, v6
	v_lshlrev_b64 v[5:6], v0, v[4:5]
	s_mov_b64 s[4:5], 0
	v_lshl_or_b32 v0, v8, 2, 60
	s_waitcnt lgkmcnt(0)
	s_sub_i32 s14, s1, s0
	v_mov_b32_e32 v11, s7
	s_waitcnt vmcnt(0)
	v_subrev_u32_e32 v10, s1, v7
	s_branch .LBB16_6
.LBB16_5:                               ;   in Loop: Header=BB16_6 Depth=1
	s_or_b64 exec, exec, s[0:1]
	ds_bpermute_b32 v4, v0, v12
	v_add_u32_e32 v3, 16, v3
	v_cmp_ge_i32_e32 vcc, v3, v9
	s_or_b64 s[4:5], vcc, s[4:5]
	s_waitcnt lgkmcnt(0)
	v_add_u32_e32 v10, v4, v10
	s_andn2_b64 exec, exec, s[4:5]
	s_cbranch_execz .LBB16_8
.LBB16_6:                               ; =>This Inner Loop Header: Depth=1
	v_ashrrev_i32_e32 v4, 31, v3
	v_lshlrev_b64 v[7:8], 3, v[3:4]
	v_add_co_u32_e32 v7, vcc, s6, v7
	v_addc_co_u32_e32 v8, vcc, v11, v8, vcc
	global_load_dwordx2 v[7:8], v[7:8], off
	s_waitcnt vmcnt(0)
	v_cmp_gt_f64_e32 vcc, 0, v[7:8]
	v_xor_b32_e32 v13, 0x80000000, v8
	v_mov_b32_e32 v12, v7
	v_cndmask_b32_e32 v13, v8, v13, vcc
	v_cmp_gt_f64_e32 vcc, v[12:13], v[1:2]
	v_cmp_lt_f64_e64 s[0:1], s[12:13], v[12:13]
	s_and_b64 s[16:17], vcc, s[0:1]
	v_cndmask_b32_e64 v12, 0, 1, s[16:17]
	v_cmp_ne_u32_e32 vcc, 0, v12
	v_and_b32_e32 v13, vcc_lo, v5
	v_and_b32_e32 v12, vcc_hi, v6
	v_bcnt_u32_b32 v13, v13, 0
	v_bcnt_u32_b32 v12, v12, v13
	s_and_saveexec_b64 s[0:1], s[16:17]
	s_cbranch_execz .LBB16_5
; %bb.7:                                ;   in Loop: Header=BB16_6 Depth=1
	v_lshlrev_b64 v[13:14], 2, v[3:4]
	v_mov_b32_e32 v4, s11
	v_add_co_u32_e32 v13, vcc, s10, v13
	v_addc_co_u32_e32 v14, vcc, v4, v14, vcc
	global_load_dword v4, v[13:14], off
	v_ashrrev_i32_e32 v14, 31, v10
	v_add_co_u32_e32 v13, vcc, v10, v12
	v_addc_co_u32_e32 v14, vcc, 0, v14, vcc
	v_lshlrev_b64 v[15:16], 3, v[13:14]
	v_mov_b32_e32 v17, s9
	v_lshlrev_b64 v[13:14], 2, v[13:14]
	v_add_co_u32_e32 v15, vcc, s8, v15
	v_addc_co_u32_e32 v16, vcc, v17, v16, vcc
	v_mov_b32_e32 v18, s3
	global_store_dwordx2 v[15:16], v[7:8], off offset:-8
	v_add_co_u32_e32 v7, vcc, s2, v13
	v_addc_co_u32_e32 v8, vcc, v18, v14, vcc
	s_waitcnt vmcnt(1)
	v_add_u32_e32 v4, s14, v4
	global_store_dword v[7:8], v4, off offset:-4
	s_branch .LBB16_5
.LBB16_8:
	s_endpgm
	.section	.rodata,"a",@progbits
	.p2align	6, 0x0
	.amdhsa_kernel _ZN9rocsparseL23csr2csr_compress_kernelILi1024ELi64ELi16ELi32EdEEvii21rocsparse_index_base_PKT3_PKiS6_iS1_PS2_S6_PiNS_24const_host_device_scalarIS2_EEb
		.amdhsa_group_segment_fixed_size 0
		.amdhsa_private_segment_fixed_size 0
		.amdhsa_kernarg_size 84
		.amdhsa_user_sgpr_count 6
		.amdhsa_user_sgpr_private_segment_buffer 1
		.amdhsa_user_sgpr_dispatch_ptr 0
		.amdhsa_user_sgpr_queue_ptr 0
		.amdhsa_user_sgpr_kernarg_segment_ptr 1
		.amdhsa_user_sgpr_dispatch_id 0
		.amdhsa_user_sgpr_flat_scratch_init 0
		.amdhsa_user_sgpr_private_segment_size 0
		.amdhsa_uses_dynamic_stack 0
		.amdhsa_system_sgpr_private_segment_wavefront_offset 0
		.amdhsa_system_sgpr_workgroup_id_x 1
		.amdhsa_system_sgpr_workgroup_id_y 0
		.amdhsa_system_sgpr_workgroup_id_z 0
		.amdhsa_system_sgpr_workgroup_info 0
		.amdhsa_system_vgpr_workitem_id 0
		.amdhsa_next_free_vgpr 19
		.amdhsa_next_free_sgpr 18
		.amdhsa_reserve_vcc 1
		.amdhsa_reserve_flat_scratch 0
		.amdhsa_float_round_mode_32 0
		.amdhsa_float_round_mode_16_64 0
		.amdhsa_float_denorm_mode_32 3
		.amdhsa_float_denorm_mode_16_64 3
		.amdhsa_dx10_clamp 1
		.amdhsa_ieee_mode 1
		.amdhsa_fp16_overflow 0
		.amdhsa_exception_fp_ieee_invalid_op 0
		.amdhsa_exception_fp_denorm_src 0
		.amdhsa_exception_fp_ieee_div_zero 0
		.amdhsa_exception_fp_ieee_overflow 0
		.amdhsa_exception_fp_ieee_underflow 0
		.amdhsa_exception_fp_ieee_inexact 0
		.amdhsa_exception_int_div_zero 0
	.end_amdhsa_kernel
	.section	.text._ZN9rocsparseL23csr2csr_compress_kernelILi1024ELi64ELi16ELi32EdEEvii21rocsparse_index_base_PKT3_PKiS6_iS1_PS2_S6_PiNS_24const_host_device_scalarIS2_EEb,"axG",@progbits,_ZN9rocsparseL23csr2csr_compress_kernelILi1024ELi64ELi16ELi32EdEEvii21rocsparse_index_base_PKT3_PKiS6_iS1_PS2_S6_PiNS_24const_host_device_scalarIS2_EEb,comdat
.Lfunc_end16:
	.size	_ZN9rocsparseL23csr2csr_compress_kernelILi1024ELi64ELi16ELi32EdEEvii21rocsparse_index_base_PKT3_PKiS6_iS1_PS2_S6_PiNS_24const_host_device_scalarIS2_EEb, .Lfunc_end16-_ZN9rocsparseL23csr2csr_compress_kernelILi1024ELi64ELi16ELi32EdEEvii21rocsparse_index_base_PKT3_PKiS6_iS1_PS2_S6_PiNS_24const_host_device_scalarIS2_EEb
                                        ; -- End function
	.set _ZN9rocsparseL23csr2csr_compress_kernelILi1024ELi64ELi16ELi32EdEEvii21rocsparse_index_base_PKT3_PKiS6_iS1_PS2_S6_PiNS_24const_host_device_scalarIS2_EEb.num_vgpr, 19
	.set _ZN9rocsparseL23csr2csr_compress_kernelILi1024ELi64ELi16ELi32EdEEvii21rocsparse_index_base_PKT3_PKiS6_iS1_PS2_S6_PiNS_24const_host_device_scalarIS2_EEb.num_agpr, 0
	.set _ZN9rocsparseL23csr2csr_compress_kernelILi1024ELi64ELi16ELi32EdEEvii21rocsparse_index_base_PKT3_PKiS6_iS1_PS2_S6_PiNS_24const_host_device_scalarIS2_EEb.numbered_sgpr, 18
	.set _ZN9rocsparseL23csr2csr_compress_kernelILi1024ELi64ELi16ELi32EdEEvii21rocsparse_index_base_PKT3_PKiS6_iS1_PS2_S6_PiNS_24const_host_device_scalarIS2_EEb.num_named_barrier, 0
	.set _ZN9rocsparseL23csr2csr_compress_kernelILi1024ELi64ELi16ELi32EdEEvii21rocsparse_index_base_PKT3_PKiS6_iS1_PS2_S6_PiNS_24const_host_device_scalarIS2_EEb.private_seg_size, 0
	.set _ZN9rocsparseL23csr2csr_compress_kernelILi1024ELi64ELi16ELi32EdEEvii21rocsparse_index_base_PKT3_PKiS6_iS1_PS2_S6_PiNS_24const_host_device_scalarIS2_EEb.uses_vcc, 1
	.set _ZN9rocsparseL23csr2csr_compress_kernelILi1024ELi64ELi16ELi32EdEEvii21rocsparse_index_base_PKT3_PKiS6_iS1_PS2_S6_PiNS_24const_host_device_scalarIS2_EEb.uses_flat_scratch, 0
	.set _ZN9rocsparseL23csr2csr_compress_kernelILi1024ELi64ELi16ELi32EdEEvii21rocsparse_index_base_PKT3_PKiS6_iS1_PS2_S6_PiNS_24const_host_device_scalarIS2_EEb.has_dyn_sized_stack, 0
	.set _ZN9rocsparseL23csr2csr_compress_kernelILi1024ELi64ELi16ELi32EdEEvii21rocsparse_index_base_PKT3_PKiS6_iS1_PS2_S6_PiNS_24const_host_device_scalarIS2_EEb.has_recursion, 0
	.set _ZN9rocsparseL23csr2csr_compress_kernelILi1024ELi64ELi16ELi32EdEEvii21rocsparse_index_base_PKT3_PKiS6_iS1_PS2_S6_PiNS_24const_host_device_scalarIS2_EEb.has_indirect_call, 0
	.section	.AMDGPU.csdata,"",@progbits
; Kernel info:
; codeLenInByte = 600
; TotalNumSgprs: 22
; NumVgprs: 19
; ScratchSize: 0
; MemoryBound: 0
; FloatMode: 240
; IeeeMode: 1
; LDSByteSize: 0 bytes/workgroup (compile time only)
; SGPRBlocks: 2
; VGPRBlocks: 4
; NumSGPRsForWavesPerEU: 22
; NumVGPRsForWavesPerEU: 19
; Occupancy: 10
; WaveLimiterHint : 0
; COMPUTE_PGM_RSRC2:SCRATCH_EN: 0
; COMPUTE_PGM_RSRC2:USER_SGPR: 6
; COMPUTE_PGM_RSRC2:TRAP_HANDLER: 0
; COMPUTE_PGM_RSRC2:TGID_X_EN: 1
; COMPUTE_PGM_RSRC2:TGID_Y_EN: 0
; COMPUTE_PGM_RSRC2:TGID_Z_EN: 0
; COMPUTE_PGM_RSRC2:TIDIG_COMP_CNT: 0
	.section	.text._ZN9rocsparseL23csr2csr_compress_kernelILi1024ELi32ELi32ELi32EdEEvii21rocsparse_index_base_PKT3_PKiS6_iS1_PS2_S6_PiNS_24const_host_device_scalarIS2_EEb,"axG",@progbits,_ZN9rocsparseL23csr2csr_compress_kernelILi1024ELi32ELi32ELi32EdEEvii21rocsparse_index_base_PKT3_PKiS6_iS1_PS2_S6_PiNS_24const_host_device_scalarIS2_EEb,comdat
	.globl	_ZN9rocsparseL23csr2csr_compress_kernelILi1024ELi32ELi32ELi32EdEEvii21rocsparse_index_base_PKT3_PKiS6_iS1_PS2_S6_PiNS_24const_host_device_scalarIS2_EEb ; -- Begin function _ZN9rocsparseL23csr2csr_compress_kernelILi1024ELi32ELi32ELi32EdEEvii21rocsparse_index_base_PKT3_PKiS6_iS1_PS2_S6_PiNS_24const_host_device_scalarIS2_EEb
	.p2align	8
	.type	_ZN9rocsparseL23csr2csr_compress_kernelILi1024ELi32ELi32ELi32EdEEvii21rocsparse_index_base_PKT3_PKiS6_iS1_PS2_S6_PiNS_24const_host_device_scalarIS2_EEb,@function
_ZN9rocsparseL23csr2csr_compress_kernelILi1024ELi32ELi32ELi32EdEEvii21rocsparse_index_base_PKT3_PKiS6_iS1_PS2_S6_PiNS_24const_host_device_scalarIS2_EEb: ; @_ZN9rocsparseL23csr2csr_compress_kernelILi1024ELi32ELi32ELi32EdEEvii21rocsparse_index_base_PKT3_PKiS6_iS1_PS2_S6_PiNS_24const_host_device_scalarIS2_EEb
; %bb.0:
	s_load_dword s2, s[4:5], 0x50
	s_load_dwordx2 s[0:1], s[4:5], 0x48
	s_waitcnt lgkmcnt(0)
	s_bitcmp1_b32 s2, 0
	s_cselect_b64 s[2:3], -1, 0
	v_mov_b32_e32 v2, s1
	s_and_b64 vcc, exec, s[2:3]
	v_mov_b32_e32 v1, s0
	s_cbranch_vccnz .LBB17_2
; %bb.1:
	v_mov_b32_e32 v2, s1
	v_mov_b32_e32 v1, s0
	flat_load_dwordx2 v[1:2], v[1:2]
.LBB17_2:
	s_load_dword s0, s[4:5], 0x0
	v_lshrrev_b32_e32 v3, 5, v0
	v_lshl_or_b32 v3, s6, 5, v3
	s_waitcnt lgkmcnt(0)
	v_cmp_gt_i32_e32 vcc, s0, v3
	s_and_saveexec_b64 s[0:1], vcc
	s_cbranch_execz .LBB17_8
; %bb.3:
	s_load_dwordx2 s[2:3], s[4:5], 0x18
	s_load_dword s0, s[4:5], 0x8
	v_ashrrev_i32_e32 v4, 31, v3
	v_lshlrev_b64 v[4:5], 2, v[3:4]
	s_waitcnt lgkmcnt(0)
	v_mov_b32_e32 v3, s3
	v_add_co_u32_e32 v6, vcc, s2, v4
	v_addc_co_u32_e32 v7, vcc, v3, v5, vcc
	global_load_dwordx2 v[7:8], v[6:7], off
	v_and_b32_e32 v6, 31, v0
	v_subrev_u32_e32 v3, s0, v6
	s_waitcnt vmcnt(0)
	v_subrev_u32_e32 v0, s0, v8
	v_add_u32_e32 v3, v7, v3
	v_cmp_lt_i32_e32 vcc, v3, v0
	s_and_b64 exec, exec, vcc
	s_cbranch_execz .LBB17_8
; %bb.4:
	s_load_dwordx4 s[8:11], s[4:5], 0x30
	s_load_dwordx2 s[2:3], s[4:5], 0x40
	v_mov_b32_e32 v8, 0x7c
	s_mov_b32 s12, 0
	s_mov_b32 s13, 0x38100000
	s_waitcnt lgkmcnt(0)
	v_mov_b32_e32 v7, s11
	v_add_co_u32_e32 v4, vcc, s10, v4
	v_addc_co_u32_e32 v5, vcc, v7, v5, vcc
	global_load_dword v4, v[4:5], off
	s_load_dwordx2 s[6:7], s[4:5], 0x10
	s_load_dwordx2 s[10:11], s[4:5], 0x20
	s_load_dword s1, s[4:5], 0x2c
	v_xor_b32_e32 v5, 31, v6
	v_mbcnt_lo_u32_b32 v6, -1, 0
	v_lshrrev_b32_e64 v7, v5, -1
	v_mbcnt_hi_u32_b32 v5, -1, v6
	s_mov_b64 s[4:5], 0
	v_lshl_or_b32 v8, v5, 2, v8
	s_waitcnt lgkmcnt(0)
	s_sub_i32 s14, s1, s0
	v_mov_b32_e32 v10, s7
	s_waitcnt vmcnt(0)
	v_subrev_u32_e32 v9, s1, v4
	s_branch .LBB17_6
.LBB17_5:                               ;   in Loop: Header=BB17_6 Depth=1
	s_or_b64 exec, exec, s[0:1]
	ds_bpermute_b32 v4, v8, v11
	v_add_u32_e32 v3, 32, v3
	v_cmp_ge_i32_e32 vcc, v3, v0
	s_or_b64 s[4:5], vcc, s[4:5]
	s_waitcnt lgkmcnt(0)
	v_add_u32_e32 v9, v4, v9
	s_andn2_b64 exec, exec, s[4:5]
	s_cbranch_execz .LBB17_8
.LBB17_6:                               ; =>This Inner Loop Header: Depth=1
	v_ashrrev_i32_e32 v4, 31, v3
	v_lshlrev_b64 v[5:6], 3, v[3:4]
	v_add_co_u32_e32 v5, vcc, s6, v5
	v_addc_co_u32_e32 v6, vcc, v10, v6, vcc
	global_load_dwordx2 v[5:6], v[5:6], off
	s_waitcnt vmcnt(0)
	v_cmp_gt_f64_e32 vcc, 0, v[5:6]
	v_xor_b32_e32 v12, 0x80000000, v6
	v_mov_b32_e32 v11, v5
	v_cndmask_b32_e32 v12, v6, v12, vcc
	v_cmp_gt_f64_e32 vcc, v[11:12], v[1:2]
	v_cmp_lt_f64_e64 s[0:1], s[12:13], v[11:12]
	s_and_b64 s[16:17], vcc, s[0:1]
	v_cndmask_b32_e64 v11, 0, 1, s[16:17]
	v_cmp_ne_u32_e32 vcc, 0, v11
	v_and_b32_e32 v11, vcc_lo, v7
	v_bcnt_u32_b32 v11, v11, 0
	s_and_saveexec_b64 s[0:1], s[16:17]
	s_cbranch_execz .LBB17_5
; %bb.7:                                ;   in Loop: Header=BB17_6 Depth=1
	v_lshlrev_b64 v[12:13], 2, v[3:4]
	v_mov_b32_e32 v4, s11
	v_add_co_u32_e32 v12, vcc, s10, v12
	v_addc_co_u32_e32 v13, vcc, v4, v13, vcc
	global_load_dword v4, v[12:13], off
	v_ashrrev_i32_e32 v13, 31, v9
	v_add_co_u32_e32 v12, vcc, v9, v11
	v_addc_co_u32_e32 v13, vcc, 0, v13, vcc
	v_lshlrev_b64 v[14:15], 3, v[12:13]
	v_mov_b32_e32 v16, s9
	v_lshlrev_b64 v[12:13], 2, v[12:13]
	v_add_co_u32_e32 v14, vcc, s8, v14
	v_addc_co_u32_e32 v15, vcc, v16, v15, vcc
	v_mov_b32_e32 v17, s3
	global_store_dwordx2 v[14:15], v[5:6], off offset:-8
	s_waitcnt vmcnt(1)
	v_add_u32_e32 v6, s14, v4
	v_add_co_u32_e32 v4, vcc, s2, v12
	v_addc_co_u32_e32 v5, vcc, v17, v13, vcc
	global_store_dword v[4:5], v6, off offset:-4
	s_branch .LBB17_5
.LBB17_8:
	s_endpgm
	.section	.rodata,"a",@progbits
	.p2align	6, 0x0
	.amdhsa_kernel _ZN9rocsparseL23csr2csr_compress_kernelILi1024ELi32ELi32ELi32EdEEvii21rocsparse_index_base_PKT3_PKiS6_iS1_PS2_S6_PiNS_24const_host_device_scalarIS2_EEb
		.amdhsa_group_segment_fixed_size 0
		.amdhsa_private_segment_fixed_size 0
		.amdhsa_kernarg_size 84
		.amdhsa_user_sgpr_count 6
		.amdhsa_user_sgpr_private_segment_buffer 1
		.amdhsa_user_sgpr_dispatch_ptr 0
		.amdhsa_user_sgpr_queue_ptr 0
		.amdhsa_user_sgpr_kernarg_segment_ptr 1
		.amdhsa_user_sgpr_dispatch_id 0
		.amdhsa_user_sgpr_flat_scratch_init 0
		.amdhsa_user_sgpr_private_segment_size 0
		.amdhsa_uses_dynamic_stack 0
		.amdhsa_system_sgpr_private_segment_wavefront_offset 0
		.amdhsa_system_sgpr_workgroup_id_x 1
		.amdhsa_system_sgpr_workgroup_id_y 0
		.amdhsa_system_sgpr_workgroup_id_z 0
		.amdhsa_system_sgpr_workgroup_info 0
		.amdhsa_system_vgpr_workitem_id 0
		.amdhsa_next_free_vgpr 18
		.amdhsa_next_free_sgpr 18
		.amdhsa_reserve_vcc 1
		.amdhsa_reserve_flat_scratch 0
		.amdhsa_float_round_mode_32 0
		.amdhsa_float_round_mode_16_64 0
		.amdhsa_float_denorm_mode_32 3
		.amdhsa_float_denorm_mode_16_64 3
		.amdhsa_dx10_clamp 1
		.amdhsa_ieee_mode 1
		.amdhsa_fp16_overflow 0
		.amdhsa_exception_fp_ieee_invalid_op 0
		.amdhsa_exception_fp_denorm_src 0
		.amdhsa_exception_fp_ieee_div_zero 0
		.amdhsa_exception_fp_ieee_overflow 0
		.amdhsa_exception_fp_ieee_underflow 0
		.amdhsa_exception_fp_ieee_inexact 0
		.amdhsa_exception_int_div_zero 0
	.end_amdhsa_kernel
	.section	.text._ZN9rocsparseL23csr2csr_compress_kernelILi1024ELi32ELi32ELi32EdEEvii21rocsparse_index_base_PKT3_PKiS6_iS1_PS2_S6_PiNS_24const_host_device_scalarIS2_EEb,"axG",@progbits,_ZN9rocsparseL23csr2csr_compress_kernelILi1024ELi32ELi32ELi32EdEEvii21rocsparse_index_base_PKT3_PKiS6_iS1_PS2_S6_PiNS_24const_host_device_scalarIS2_EEb,comdat
.Lfunc_end17:
	.size	_ZN9rocsparseL23csr2csr_compress_kernelILi1024ELi32ELi32ELi32EdEEvii21rocsparse_index_base_PKT3_PKiS6_iS1_PS2_S6_PiNS_24const_host_device_scalarIS2_EEb, .Lfunc_end17-_ZN9rocsparseL23csr2csr_compress_kernelILi1024ELi32ELi32ELi32EdEEvii21rocsparse_index_base_PKT3_PKiS6_iS1_PS2_S6_PiNS_24const_host_device_scalarIS2_EEb
                                        ; -- End function
	.set _ZN9rocsparseL23csr2csr_compress_kernelILi1024ELi32ELi32ELi32EdEEvii21rocsparse_index_base_PKT3_PKiS6_iS1_PS2_S6_PiNS_24const_host_device_scalarIS2_EEb.num_vgpr, 18
	.set _ZN9rocsparseL23csr2csr_compress_kernelILi1024ELi32ELi32ELi32EdEEvii21rocsparse_index_base_PKT3_PKiS6_iS1_PS2_S6_PiNS_24const_host_device_scalarIS2_EEb.num_agpr, 0
	.set _ZN9rocsparseL23csr2csr_compress_kernelILi1024ELi32ELi32ELi32EdEEvii21rocsparse_index_base_PKT3_PKiS6_iS1_PS2_S6_PiNS_24const_host_device_scalarIS2_EEb.numbered_sgpr, 18
	.set _ZN9rocsparseL23csr2csr_compress_kernelILi1024ELi32ELi32ELi32EdEEvii21rocsparse_index_base_PKT3_PKiS6_iS1_PS2_S6_PiNS_24const_host_device_scalarIS2_EEb.num_named_barrier, 0
	.set _ZN9rocsparseL23csr2csr_compress_kernelILi1024ELi32ELi32ELi32EdEEvii21rocsparse_index_base_PKT3_PKiS6_iS1_PS2_S6_PiNS_24const_host_device_scalarIS2_EEb.private_seg_size, 0
	.set _ZN9rocsparseL23csr2csr_compress_kernelILi1024ELi32ELi32ELi32EdEEvii21rocsparse_index_base_PKT3_PKiS6_iS1_PS2_S6_PiNS_24const_host_device_scalarIS2_EEb.uses_vcc, 1
	.set _ZN9rocsparseL23csr2csr_compress_kernelILi1024ELi32ELi32ELi32EdEEvii21rocsparse_index_base_PKT3_PKiS6_iS1_PS2_S6_PiNS_24const_host_device_scalarIS2_EEb.uses_flat_scratch, 0
	.set _ZN9rocsparseL23csr2csr_compress_kernelILi1024ELi32ELi32ELi32EdEEvii21rocsparse_index_base_PKT3_PKiS6_iS1_PS2_S6_PiNS_24const_host_device_scalarIS2_EEb.has_dyn_sized_stack, 0
	.set _ZN9rocsparseL23csr2csr_compress_kernelILi1024ELi32ELi32ELi32EdEEvii21rocsparse_index_base_PKT3_PKiS6_iS1_PS2_S6_PiNS_24const_host_device_scalarIS2_EEb.has_recursion, 0
	.set _ZN9rocsparseL23csr2csr_compress_kernelILi1024ELi32ELi32ELi32EdEEvii21rocsparse_index_base_PKT3_PKiS6_iS1_PS2_S6_PiNS_24const_host_device_scalarIS2_EEb.has_indirect_call, 0
	.section	.AMDGPU.csdata,"",@progbits
; Kernel info:
; codeLenInByte = 580
; TotalNumSgprs: 22
; NumVgprs: 18
; ScratchSize: 0
; MemoryBound: 0
; FloatMode: 240
; IeeeMode: 1
; LDSByteSize: 0 bytes/workgroup (compile time only)
; SGPRBlocks: 2
; VGPRBlocks: 4
; NumSGPRsForWavesPerEU: 22
; NumVGPRsForWavesPerEU: 18
; Occupancy: 10
; WaveLimiterHint : 0
; COMPUTE_PGM_RSRC2:SCRATCH_EN: 0
; COMPUTE_PGM_RSRC2:USER_SGPR: 6
; COMPUTE_PGM_RSRC2:TRAP_HANDLER: 0
; COMPUTE_PGM_RSRC2:TGID_X_EN: 1
; COMPUTE_PGM_RSRC2:TGID_Y_EN: 0
; COMPUTE_PGM_RSRC2:TGID_Z_EN: 0
; COMPUTE_PGM_RSRC2:TIDIG_COMP_CNT: 0
	.section	.text._ZN9rocsparseL23csr2csr_compress_kernelILi1024ELi512ELi2ELi64EdEEvii21rocsparse_index_base_PKT3_PKiS6_iS1_PS2_S6_PiNS_24const_host_device_scalarIS2_EEb,"axG",@progbits,_ZN9rocsparseL23csr2csr_compress_kernelILi1024ELi512ELi2ELi64EdEEvii21rocsparse_index_base_PKT3_PKiS6_iS1_PS2_S6_PiNS_24const_host_device_scalarIS2_EEb,comdat
	.globl	_ZN9rocsparseL23csr2csr_compress_kernelILi1024ELi512ELi2ELi64EdEEvii21rocsparse_index_base_PKT3_PKiS6_iS1_PS2_S6_PiNS_24const_host_device_scalarIS2_EEb ; -- Begin function _ZN9rocsparseL23csr2csr_compress_kernelILi1024ELi512ELi2ELi64EdEEvii21rocsparse_index_base_PKT3_PKiS6_iS1_PS2_S6_PiNS_24const_host_device_scalarIS2_EEb
	.p2align	8
	.type	_ZN9rocsparseL23csr2csr_compress_kernelILi1024ELi512ELi2ELi64EdEEvii21rocsparse_index_base_PKT3_PKiS6_iS1_PS2_S6_PiNS_24const_host_device_scalarIS2_EEb,@function
_ZN9rocsparseL23csr2csr_compress_kernelILi1024ELi512ELi2ELi64EdEEvii21rocsparse_index_base_PKT3_PKiS6_iS1_PS2_S6_PiNS_24const_host_device_scalarIS2_EEb: ; @_ZN9rocsparseL23csr2csr_compress_kernelILi1024ELi512ELi2ELi64EdEEvii21rocsparse_index_base_PKT3_PKiS6_iS1_PS2_S6_PiNS_24const_host_device_scalarIS2_EEb
; %bb.0:
	s_load_dword s2, s[4:5], 0x50
	s_load_dwordx2 s[0:1], s[4:5], 0x48
	s_waitcnt lgkmcnt(0)
	s_bitcmp1_b32 s2, 0
	s_cselect_b64 s[2:3], -1, 0
	v_mov_b32_e32 v2, s1
	s_and_b64 vcc, exec, s[2:3]
	v_mov_b32_e32 v1, s0
	s_cbranch_vccnz .LBB18_2
; %bb.1:
	v_mov_b32_e32 v2, s1
	v_mov_b32_e32 v1, s0
	flat_load_dwordx2 v[1:2], v[1:2]
.LBB18_2:
	s_load_dword s0, s[4:5], 0x0
	v_lshrrev_b32_e32 v3, 1, v0
	v_lshl_or_b32 v3, s6, 9, v3
	s_waitcnt lgkmcnt(0)
	v_cmp_gt_i32_e32 vcc, s0, v3
	s_and_saveexec_b64 s[0:1], vcc
	s_cbranch_execz .LBB18_8
; %bb.3:
	s_load_dwordx2 s[2:3], s[4:5], 0x18
	s_load_dword s0, s[4:5], 0x8
	v_ashrrev_i32_e32 v4, 31, v3
	v_lshlrev_b64 v[4:5], 2, v[3:4]
	s_waitcnt lgkmcnt(0)
	v_mov_b32_e32 v3, s3
	v_add_co_u32_e32 v6, vcc, s2, v4
	v_addc_co_u32_e32 v7, vcc, v3, v5, vcc
	global_load_dwordx2 v[7:8], v[6:7], off
	v_and_b32_e32 v6, 1, v0
	v_subrev_u32_e32 v3, s0, v6
	s_waitcnt vmcnt(0)
	v_subrev_u32_e32 v9, s0, v8
	v_add_u32_e32 v3, v7, v3
	v_cmp_lt_i32_e32 vcc, v3, v9
	s_and_b64 exec, exec, vcc
	s_cbranch_execz .LBB18_8
; %bb.4:
	s_load_dwordx4 s[8:11], s[4:5], 0x30
	s_load_dwordx2 s[2:3], s[4:5], 0x40
	v_and_b32_e32 v0, 62, v0
	s_mov_b32 s12, 0
	s_mov_b32 s13, 0x38100000
	s_waitcnt lgkmcnt(0)
	v_mov_b32_e32 v7, s11
	v_add_co_u32_e32 v4, vcc, s10, v4
	v_addc_co_u32_e32 v5, vcc, v7, v5, vcc
	global_load_dword v7, v[4:5], off
	s_load_dwordx2 s[6:7], s[4:5], 0x10
	s_load_dwordx2 s[10:11], s[4:5], 0x20
	s_load_dword s1, s[4:5], 0x2c
	v_not_b32_e32 v4, v6
	v_mov_b32_e32 v5, 0
	v_mbcnt_lo_u32_b32 v6, -1, 0
	v_lshrrev_b32_e64 v4, v4, -1
	v_mbcnt_hi_u32_b32 v8, -1, v6
	v_lshlrev_b64 v[5:6], v0, v[4:5]
	s_mov_b64 s[4:5], 0
	v_lshl_or_b32 v0, v8, 2, 4
	s_waitcnt lgkmcnt(0)
	s_sub_i32 s14, s1, s0
	v_mov_b32_e32 v11, s7
	s_waitcnt vmcnt(0)
	v_subrev_u32_e32 v10, s1, v7
	s_branch .LBB18_6
.LBB18_5:                               ;   in Loop: Header=BB18_6 Depth=1
	s_or_b64 exec, exec, s[0:1]
	ds_bpermute_b32 v4, v0, v12
	v_add_u32_e32 v3, 2, v3
	v_cmp_ge_i32_e32 vcc, v3, v9
	s_or_b64 s[4:5], vcc, s[4:5]
	s_waitcnt lgkmcnt(0)
	v_add_u32_e32 v10, v4, v10
	s_andn2_b64 exec, exec, s[4:5]
	s_cbranch_execz .LBB18_8
.LBB18_6:                               ; =>This Inner Loop Header: Depth=1
	v_ashrrev_i32_e32 v4, 31, v3
	v_lshlrev_b64 v[7:8], 3, v[3:4]
	v_add_co_u32_e32 v7, vcc, s6, v7
	v_addc_co_u32_e32 v8, vcc, v11, v8, vcc
	global_load_dwordx2 v[7:8], v[7:8], off
	s_waitcnt vmcnt(0)
	v_cmp_gt_f64_e32 vcc, 0, v[7:8]
	v_xor_b32_e32 v13, 0x80000000, v8
	v_mov_b32_e32 v12, v7
	v_cndmask_b32_e32 v13, v8, v13, vcc
	v_cmp_gt_f64_e32 vcc, v[12:13], v[1:2]
	v_cmp_lt_f64_e64 s[0:1], s[12:13], v[12:13]
	s_and_b64 s[16:17], vcc, s[0:1]
	v_cndmask_b32_e64 v12, 0, 1, s[16:17]
	v_cmp_ne_u32_e32 vcc, 0, v12
	v_and_b32_e32 v13, vcc_lo, v5
	v_and_b32_e32 v12, vcc_hi, v6
	v_bcnt_u32_b32 v13, v13, 0
	v_bcnt_u32_b32 v12, v12, v13
	s_and_saveexec_b64 s[0:1], s[16:17]
	s_cbranch_execz .LBB18_5
; %bb.7:                                ;   in Loop: Header=BB18_6 Depth=1
	v_lshlrev_b64 v[13:14], 2, v[3:4]
	v_mov_b32_e32 v4, s11
	v_add_co_u32_e32 v13, vcc, s10, v13
	v_addc_co_u32_e32 v14, vcc, v4, v14, vcc
	global_load_dword v4, v[13:14], off
	v_ashrrev_i32_e32 v14, 31, v10
	v_add_co_u32_e32 v13, vcc, v10, v12
	v_addc_co_u32_e32 v14, vcc, 0, v14, vcc
	v_lshlrev_b64 v[15:16], 3, v[13:14]
	v_mov_b32_e32 v17, s9
	v_lshlrev_b64 v[13:14], 2, v[13:14]
	v_add_co_u32_e32 v15, vcc, s8, v15
	v_addc_co_u32_e32 v16, vcc, v17, v16, vcc
	v_mov_b32_e32 v18, s3
	global_store_dwordx2 v[15:16], v[7:8], off offset:-8
	v_add_co_u32_e32 v7, vcc, s2, v13
	v_addc_co_u32_e32 v8, vcc, v18, v14, vcc
	s_waitcnt vmcnt(1)
	v_add_u32_e32 v4, s14, v4
	global_store_dword v[7:8], v4, off offset:-4
	s_branch .LBB18_5
.LBB18_8:
	s_endpgm
	.section	.rodata,"a",@progbits
	.p2align	6, 0x0
	.amdhsa_kernel _ZN9rocsparseL23csr2csr_compress_kernelILi1024ELi512ELi2ELi64EdEEvii21rocsparse_index_base_PKT3_PKiS6_iS1_PS2_S6_PiNS_24const_host_device_scalarIS2_EEb
		.amdhsa_group_segment_fixed_size 0
		.amdhsa_private_segment_fixed_size 0
		.amdhsa_kernarg_size 84
		.amdhsa_user_sgpr_count 6
		.amdhsa_user_sgpr_private_segment_buffer 1
		.amdhsa_user_sgpr_dispatch_ptr 0
		.amdhsa_user_sgpr_queue_ptr 0
		.amdhsa_user_sgpr_kernarg_segment_ptr 1
		.amdhsa_user_sgpr_dispatch_id 0
		.amdhsa_user_sgpr_flat_scratch_init 0
		.amdhsa_user_sgpr_private_segment_size 0
		.amdhsa_uses_dynamic_stack 0
		.amdhsa_system_sgpr_private_segment_wavefront_offset 0
		.amdhsa_system_sgpr_workgroup_id_x 1
		.amdhsa_system_sgpr_workgroup_id_y 0
		.amdhsa_system_sgpr_workgroup_id_z 0
		.amdhsa_system_sgpr_workgroup_info 0
		.amdhsa_system_vgpr_workitem_id 0
		.amdhsa_next_free_vgpr 19
		.amdhsa_next_free_sgpr 18
		.amdhsa_reserve_vcc 1
		.amdhsa_reserve_flat_scratch 0
		.amdhsa_float_round_mode_32 0
		.amdhsa_float_round_mode_16_64 0
		.amdhsa_float_denorm_mode_32 3
		.amdhsa_float_denorm_mode_16_64 3
		.amdhsa_dx10_clamp 1
		.amdhsa_ieee_mode 1
		.amdhsa_fp16_overflow 0
		.amdhsa_exception_fp_ieee_invalid_op 0
		.amdhsa_exception_fp_denorm_src 0
		.amdhsa_exception_fp_ieee_div_zero 0
		.amdhsa_exception_fp_ieee_overflow 0
		.amdhsa_exception_fp_ieee_underflow 0
		.amdhsa_exception_fp_ieee_inexact 0
		.amdhsa_exception_int_div_zero 0
	.end_amdhsa_kernel
	.section	.text._ZN9rocsparseL23csr2csr_compress_kernelILi1024ELi512ELi2ELi64EdEEvii21rocsparse_index_base_PKT3_PKiS6_iS1_PS2_S6_PiNS_24const_host_device_scalarIS2_EEb,"axG",@progbits,_ZN9rocsparseL23csr2csr_compress_kernelILi1024ELi512ELi2ELi64EdEEvii21rocsparse_index_base_PKT3_PKiS6_iS1_PS2_S6_PiNS_24const_host_device_scalarIS2_EEb,comdat
.Lfunc_end18:
	.size	_ZN9rocsparseL23csr2csr_compress_kernelILi1024ELi512ELi2ELi64EdEEvii21rocsparse_index_base_PKT3_PKiS6_iS1_PS2_S6_PiNS_24const_host_device_scalarIS2_EEb, .Lfunc_end18-_ZN9rocsparseL23csr2csr_compress_kernelILi1024ELi512ELi2ELi64EdEEvii21rocsparse_index_base_PKT3_PKiS6_iS1_PS2_S6_PiNS_24const_host_device_scalarIS2_EEb
                                        ; -- End function
	.set _ZN9rocsparseL23csr2csr_compress_kernelILi1024ELi512ELi2ELi64EdEEvii21rocsparse_index_base_PKT3_PKiS6_iS1_PS2_S6_PiNS_24const_host_device_scalarIS2_EEb.num_vgpr, 19
	.set _ZN9rocsparseL23csr2csr_compress_kernelILi1024ELi512ELi2ELi64EdEEvii21rocsparse_index_base_PKT3_PKiS6_iS1_PS2_S6_PiNS_24const_host_device_scalarIS2_EEb.num_agpr, 0
	.set _ZN9rocsparseL23csr2csr_compress_kernelILi1024ELi512ELi2ELi64EdEEvii21rocsparse_index_base_PKT3_PKiS6_iS1_PS2_S6_PiNS_24const_host_device_scalarIS2_EEb.numbered_sgpr, 18
	.set _ZN9rocsparseL23csr2csr_compress_kernelILi1024ELi512ELi2ELi64EdEEvii21rocsparse_index_base_PKT3_PKiS6_iS1_PS2_S6_PiNS_24const_host_device_scalarIS2_EEb.num_named_barrier, 0
	.set _ZN9rocsparseL23csr2csr_compress_kernelILi1024ELi512ELi2ELi64EdEEvii21rocsparse_index_base_PKT3_PKiS6_iS1_PS2_S6_PiNS_24const_host_device_scalarIS2_EEb.private_seg_size, 0
	.set _ZN9rocsparseL23csr2csr_compress_kernelILi1024ELi512ELi2ELi64EdEEvii21rocsparse_index_base_PKT3_PKiS6_iS1_PS2_S6_PiNS_24const_host_device_scalarIS2_EEb.uses_vcc, 1
	.set _ZN9rocsparseL23csr2csr_compress_kernelILi1024ELi512ELi2ELi64EdEEvii21rocsparse_index_base_PKT3_PKiS6_iS1_PS2_S6_PiNS_24const_host_device_scalarIS2_EEb.uses_flat_scratch, 0
	.set _ZN9rocsparseL23csr2csr_compress_kernelILi1024ELi512ELi2ELi64EdEEvii21rocsparse_index_base_PKT3_PKiS6_iS1_PS2_S6_PiNS_24const_host_device_scalarIS2_EEb.has_dyn_sized_stack, 0
	.set _ZN9rocsparseL23csr2csr_compress_kernelILi1024ELi512ELi2ELi64EdEEvii21rocsparse_index_base_PKT3_PKiS6_iS1_PS2_S6_PiNS_24const_host_device_scalarIS2_EEb.has_recursion, 0
	.set _ZN9rocsparseL23csr2csr_compress_kernelILi1024ELi512ELi2ELi64EdEEvii21rocsparse_index_base_PKT3_PKiS6_iS1_PS2_S6_PiNS_24const_host_device_scalarIS2_EEb.has_indirect_call, 0
	.section	.AMDGPU.csdata,"",@progbits
; Kernel info:
; codeLenInByte = 600
; TotalNumSgprs: 22
; NumVgprs: 19
; ScratchSize: 0
; MemoryBound: 0
; FloatMode: 240
; IeeeMode: 1
; LDSByteSize: 0 bytes/workgroup (compile time only)
; SGPRBlocks: 2
; VGPRBlocks: 4
; NumSGPRsForWavesPerEU: 22
; NumVGPRsForWavesPerEU: 19
; Occupancy: 10
; WaveLimiterHint : 0
; COMPUTE_PGM_RSRC2:SCRATCH_EN: 0
; COMPUTE_PGM_RSRC2:USER_SGPR: 6
; COMPUTE_PGM_RSRC2:TRAP_HANDLER: 0
; COMPUTE_PGM_RSRC2:TGID_X_EN: 1
; COMPUTE_PGM_RSRC2:TGID_Y_EN: 0
; COMPUTE_PGM_RSRC2:TGID_Z_EN: 0
; COMPUTE_PGM_RSRC2:TIDIG_COMP_CNT: 0
	.section	.text._ZN9rocsparseL23csr2csr_compress_kernelILi1024ELi256ELi4ELi64EdEEvii21rocsparse_index_base_PKT3_PKiS6_iS1_PS2_S6_PiNS_24const_host_device_scalarIS2_EEb,"axG",@progbits,_ZN9rocsparseL23csr2csr_compress_kernelILi1024ELi256ELi4ELi64EdEEvii21rocsparse_index_base_PKT3_PKiS6_iS1_PS2_S6_PiNS_24const_host_device_scalarIS2_EEb,comdat
	.globl	_ZN9rocsparseL23csr2csr_compress_kernelILi1024ELi256ELi4ELi64EdEEvii21rocsparse_index_base_PKT3_PKiS6_iS1_PS2_S6_PiNS_24const_host_device_scalarIS2_EEb ; -- Begin function _ZN9rocsparseL23csr2csr_compress_kernelILi1024ELi256ELi4ELi64EdEEvii21rocsparse_index_base_PKT3_PKiS6_iS1_PS2_S6_PiNS_24const_host_device_scalarIS2_EEb
	.p2align	8
	.type	_ZN9rocsparseL23csr2csr_compress_kernelILi1024ELi256ELi4ELi64EdEEvii21rocsparse_index_base_PKT3_PKiS6_iS1_PS2_S6_PiNS_24const_host_device_scalarIS2_EEb,@function
_ZN9rocsparseL23csr2csr_compress_kernelILi1024ELi256ELi4ELi64EdEEvii21rocsparse_index_base_PKT3_PKiS6_iS1_PS2_S6_PiNS_24const_host_device_scalarIS2_EEb: ; @_ZN9rocsparseL23csr2csr_compress_kernelILi1024ELi256ELi4ELi64EdEEvii21rocsparse_index_base_PKT3_PKiS6_iS1_PS2_S6_PiNS_24const_host_device_scalarIS2_EEb
; %bb.0:
	s_load_dword s2, s[4:5], 0x50
	s_load_dwordx2 s[0:1], s[4:5], 0x48
	s_waitcnt lgkmcnt(0)
	s_bitcmp1_b32 s2, 0
	s_cselect_b64 s[2:3], -1, 0
	v_mov_b32_e32 v2, s1
	s_and_b64 vcc, exec, s[2:3]
	v_mov_b32_e32 v1, s0
	s_cbranch_vccnz .LBB19_2
; %bb.1:
	v_mov_b32_e32 v2, s1
	v_mov_b32_e32 v1, s0
	flat_load_dwordx2 v[1:2], v[1:2]
.LBB19_2:
	s_load_dword s0, s[4:5], 0x0
	v_lshrrev_b32_e32 v3, 2, v0
	v_lshl_or_b32 v3, s6, 8, v3
	s_waitcnt lgkmcnt(0)
	v_cmp_gt_i32_e32 vcc, s0, v3
	s_and_saveexec_b64 s[0:1], vcc
	s_cbranch_execz .LBB19_8
; %bb.3:
	s_load_dwordx2 s[2:3], s[4:5], 0x18
	s_load_dword s0, s[4:5], 0x8
	v_ashrrev_i32_e32 v4, 31, v3
	v_lshlrev_b64 v[4:5], 2, v[3:4]
	s_waitcnt lgkmcnt(0)
	v_mov_b32_e32 v3, s3
	v_add_co_u32_e32 v6, vcc, s2, v4
	v_addc_co_u32_e32 v7, vcc, v3, v5, vcc
	global_load_dwordx2 v[7:8], v[6:7], off
	v_and_b32_e32 v6, 3, v0
	v_subrev_u32_e32 v3, s0, v6
	s_waitcnt vmcnt(0)
	v_subrev_u32_e32 v9, s0, v8
	v_add_u32_e32 v3, v7, v3
	v_cmp_lt_i32_e32 vcc, v3, v9
	s_and_b64 exec, exec, vcc
	s_cbranch_execz .LBB19_8
; %bb.4:
	s_load_dwordx4 s[8:11], s[4:5], 0x30
	s_load_dwordx2 s[2:3], s[4:5], 0x40
	v_and_b32_e32 v0, 60, v0
	s_mov_b32 s12, 0
	s_mov_b32 s13, 0x38100000
	s_waitcnt lgkmcnt(0)
	v_mov_b32_e32 v7, s11
	v_add_co_u32_e32 v4, vcc, s10, v4
	v_addc_co_u32_e32 v5, vcc, v7, v5, vcc
	global_load_dword v7, v[4:5], off
	s_load_dwordx2 s[6:7], s[4:5], 0x10
	s_load_dwordx2 s[10:11], s[4:5], 0x20
	s_load_dword s1, s[4:5], 0x2c
	v_not_b32_e32 v4, v6
	v_mov_b32_e32 v5, 0
	v_mbcnt_lo_u32_b32 v6, -1, 0
	v_lshrrev_b32_e64 v4, v4, -1
	v_mbcnt_hi_u32_b32 v8, -1, v6
	v_lshlrev_b64 v[5:6], v0, v[4:5]
	s_mov_b64 s[4:5], 0
	v_lshl_or_b32 v0, v8, 2, 12
	s_waitcnt lgkmcnt(0)
	s_sub_i32 s14, s1, s0
	v_mov_b32_e32 v11, s7
	s_waitcnt vmcnt(0)
	v_subrev_u32_e32 v10, s1, v7
	s_branch .LBB19_6
.LBB19_5:                               ;   in Loop: Header=BB19_6 Depth=1
	s_or_b64 exec, exec, s[0:1]
	ds_bpermute_b32 v4, v0, v12
	v_add_u32_e32 v3, 4, v3
	v_cmp_ge_i32_e32 vcc, v3, v9
	s_or_b64 s[4:5], vcc, s[4:5]
	s_waitcnt lgkmcnt(0)
	v_add_u32_e32 v10, v4, v10
	s_andn2_b64 exec, exec, s[4:5]
	s_cbranch_execz .LBB19_8
.LBB19_6:                               ; =>This Inner Loop Header: Depth=1
	v_ashrrev_i32_e32 v4, 31, v3
	v_lshlrev_b64 v[7:8], 3, v[3:4]
	v_add_co_u32_e32 v7, vcc, s6, v7
	v_addc_co_u32_e32 v8, vcc, v11, v8, vcc
	global_load_dwordx2 v[7:8], v[7:8], off
	s_waitcnt vmcnt(0)
	v_cmp_gt_f64_e32 vcc, 0, v[7:8]
	v_xor_b32_e32 v13, 0x80000000, v8
	v_mov_b32_e32 v12, v7
	v_cndmask_b32_e32 v13, v8, v13, vcc
	v_cmp_gt_f64_e32 vcc, v[12:13], v[1:2]
	v_cmp_lt_f64_e64 s[0:1], s[12:13], v[12:13]
	s_and_b64 s[16:17], vcc, s[0:1]
	v_cndmask_b32_e64 v12, 0, 1, s[16:17]
	v_cmp_ne_u32_e32 vcc, 0, v12
	v_and_b32_e32 v13, vcc_lo, v5
	v_and_b32_e32 v12, vcc_hi, v6
	v_bcnt_u32_b32 v13, v13, 0
	v_bcnt_u32_b32 v12, v12, v13
	s_and_saveexec_b64 s[0:1], s[16:17]
	s_cbranch_execz .LBB19_5
; %bb.7:                                ;   in Loop: Header=BB19_6 Depth=1
	v_lshlrev_b64 v[13:14], 2, v[3:4]
	v_mov_b32_e32 v4, s11
	v_add_co_u32_e32 v13, vcc, s10, v13
	v_addc_co_u32_e32 v14, vcc, v4, v14, vcc
	global_load_dword v4, v[13:14], off
	v_ashrrev_i32_e32 v14, 31, v10
	v_add_co_u32_e32 v13, vcc, v10, v12
	v_addc_co_u32_e32 v14, vcc, 0, v14, vcc
	v_lshlrev_b64 v[15:16], 3, v[13:14]
	v_mov_b32_e32 v17, s9
	v_lshlrev_b64 v[13:14], 2, v[13:14]
	v_add_co_u32_e32 v15, vcc, s8, v15
	v_addc_co_u32_e32 v16, vcc, v17, v16, vcc
	v_mov_b32_e32 v18, s3
	global_store_dwordx2 v[15:16], v[7:8], off offset:-8
	v_add_co_u32_e32 v7, vcc, s2, v13
	v_addc_co_u32_e32 v8, vcc, v18, v14, vcc
	s_waitcnt vmcnt(1)
	v_add_u32_e32 v4, s14, v4
	global_store_dword v[7:8], v4, off offset:-4
	s_branch .LBB19_5
.LBB19_8:
	s_endpgm
	.section	.rodata,"a",@progbits
	.p2align	6, 0x0
	.amdhsa_kernel _ZN9rocsparseL23csr2csr_compress_kernelILi1024ELi256ELi4ELi64EdEEvii21rocsparse_index_base_PKT3_PKiS6_iS1_PS2_S6_PiNS_24const_host_device_scalarIS2_EEb
		.amdhsa_group_segment_fixed_size 0
		.amdhsa_private_segment_fixed_size 0
		.amdhsa_kernarg_size 84
		.amdhsa_user_sgpr_count 6
		.amdhsa_user_sgpr_private_segment_buffer 1
		.amdhsa_user_sgpr_dispatch_ptr 0
		.amdhsa_user_sgpr_queue_ptr 0
		.amdhsa_user_sgpr_kernarg_segment_ptr 1
		.amdhsa_user_sgpr_dispatch_id 0
		.amdhsa_user_sgpr_flat_scratch_init 0
		.amdhsa_user_sgpr_private_segment_size 0
		.amdhsa_uses_dynamic_stack 0
		.amdhsa_system_sgpr_private_segment_wavefront_offset 0
		.amdhsa_system_sgpr_workgroup_id_x 1
		.amdhsa_system_sgpr_workgroup_id_y 0
		.amdhsa_system_sgpr_workgroup_id_z 0
		.amdhsa_system_sgpr_workgroup_info 0
		.amdhsa_system_vgpr_workitem_id 0
		.amdhsa_next_free_vgpr 19
		.amdhsa_next_free_sgpr 18
		.amdhsa_reserve_vcc 1
		.amdhsa_reserve_flat_scratch 0
		.amdhsa_float_round_mode_32 0
		.amdhsa_float_round_mode_16_64 0
		.amdhsa_float_denorm_mode_32 3
		.amdhsa_float_denorm_mode_16_64 3
		.amdhsa_dx10_clamp 1
		.amdhsa_ieee_mode 1
		.amdhsa_fp16_overflow 0
		.amdhsa_exception_fp_ieee_invalid_op 0
		.amdhsa_exception_fp_denorm_src 0
		.amdhsa_exception_fp_ieee_div_zero 0
		.amdhsa_exception_fp_ieee_overflow 0
		.amdhsa_exception_fp_ieee_underflow 0
		.amdhsa_exception_fp_ieee_inexact 0
		.amdhsa_exception_int_div_zero 0
	.end_amdhsa_kernel
	.section	.text._ZN9rocsparseL23csr2csr_compress_kernelILi1024ELi256ELi4ELi64EdEEvii21rocsparse_index_base_PKT3_PKiS6_iS1_PS2_S6_PiNS_24const_host_device_scalarIS2_EEb,"axG",@progbits,_ZN9rocsparseL23csr2csr_compress_kernelILi1024ELi256ELi4ELi64EdEEvii21rocsparse_index_base_PKT3_PKiS6_iS1_PS2_S6_PiNS_24const_host_device_scalarIS2_EEb,comdat
.Lfunc_end19:
	.size	_ZN9rocsparseL23csr2csr_compress_kernelILi1024ELi256ELi4ELi64EdEEvii21rocsparse_index_base_PKT3_PKiS6_iS1_PS2_S6_PiNS_24const_host_device_scalarIS2_EEb, .Lfunc_end19-_ZN9rocsparseL23csr2csr_compress_kernelILi1024ELi256ELi4ELi64EdEEvii21rocsparse_index_base_PKT3_PKiS6_iS1_PS2_S6_PiNS_24const_host_device_scalarIS2_EEb
                                        ; -- End function
	.set _ZN9rocsparseL23csr2csr_compress_kernelILi1024ELi256ELi4ELi64EdEEvii21rocsparse_index_base_PKT3_PKiS6_iS1_PS2_S6_PiNS_24const_host_device_scalarIS2_EEb.num_vgpr, 19
	.set _ZN9rocsparseL23csr2csr_compress_kernelILi1024ELi256ELi4ELi64EdEEvii21rocsparse_index_base_PKT3_PKiS6_iS1_PS2_S6_PiNS_24const_host_device_scalarIS2_EEb.num_agpr, 0
	.set _ZN9rocsparseL23csr2csr_compress_kernelILi1024ELi256ELi4ELi64EdEEvii21rocsparse_index_base_PKT3_PKiS6_iS1_PS2_S6_PiNS_24const_host_device_scalarIS2_EEb.numbered_sgpr, 18
	.set _ZN9rocsparseL23csr2csr_compress_kernelILi1024ELi256ELi4ELi64EdEEvii21rocsparse_index_base_PKT3_PKiS6_iS1_PS2_S6_PiNS_24const_host_device_scalarIS2_EEb.num_named_barrier, 0
	.set _ZN9rocsparseL23csr2csr_compress_kernelILi1024ELi256ELi4ELi64EdEEvii21rocsparse_index_base_PKT3_PKiS6_iS1_PS2_S6_PiNS_24const_host_device_scalarIS2_EEb.private_seg_size, 0
	.set _ZN9rocsparseL23csr2csr_compress_kernelILi1024ELi256ELi4ELi64EdEEvii21rocsparse_index_base_PKT3_PKiS6_iS1_PS2_S6_PiNS_24const_host_device_scalarIS2_EEb.uses_vcc, 1
	.set _ZN9rocsparseL23csr2csr_compress_kernelILi1024ELi256ELi4ELi64EdEEvii21rocsparse_index_base_PKT3_PKiS6_iS1_PS2_S6_PiNS_24const_host_device_scalarIS2_EEb.uses_flat_scratch, 0
	.set _ZN9rocsparseL23csr2csr_compress_kernelILi1024ELi256ELi4ELi64EdEEvii21rocsparse_index_base_PKT3_PKiS6_iS1_PS2_S6_PiNS_24const_host_device_scalarIS2_EEb.has_dyn_sized_stack, 0
	.set _ZN9rocsparseL23csr2csr_compress_kernelILi1024ELi256ELi4ELi64EdEEvii21rocsparse_index_base_PKT3_PKiS6_iS1_PS2_S6_PiNS_24const_host_device_scalarIS2_EEb.has_recursion, 0
	.set _ZN9rocsparseL23csr2csr_compress_kernelILi1024ELi256ELi4ELi64EdEEvii21rocsparse_index_base_PKT3_PKiS6_iS1_PS2_S6_PiNS_24const_host_device_scalarIS2_EEb.has_indirect_call, 0
	.section	.AMDGPU.csdata,"",@progbits
; Kernel info:
; codeLenInByte = 600
; TotalNumSgprs: 22
; NumVgprs: 19
; ScratchSize: 0
; MemoryBound: 0
; FloatMode: 240
; IeeeMode: 1
; LDSByteSize: 0 bytes/workgroup (compile time only)
; SGPRBlocks: 2
; VGPRBlocks: 4
; NumSGPRsForWavesPerEU: 22
; NumVGPRsForWavesPerEU: 19
; Occupancy: 10
; WaveLimiterHint : 0
; COMPUTE_PGM_RSRC2:SCRATCH_EN: 0
; COMPUTE_PGM_RSRC2:USER_SGPR: 6
; COMPUTE_PGM_RSRC2:TRAP_HANDLER: 0
; COMPUTE_PGM_RSRC2:TGID_X_EN: 1
; COMPUTE_PGM_RSRC2:TGID_Y_EN: 0
; COMPUTE_PGM_RSRC2:TGID_Z_EN: 0
; COMPUTE_PGM_RSRC2:TIDIG_COMP_CNT: 0
	.section	.text._ZN9rocsparseL23csr2csr_compress_kernelILi1024ELi128ELi8ELi64EdEEvii21rocsparse_index_base_PKT3_PKiS6_iS1_PS2_S6_PiNS_24const_host_device_scalarIS2_EEb,"axG",@progbits,_ZN9rocsparseL23csr2csr_compress_kernelILi1024ELi128ELi8ELi64EdEEvii21rocsparse_index_base_PKT3_PKiS6_iS1_PS2_S6_PiNS_24const_host_device_scalarIS2_EEb,comdat
	.globl	_ZN9rocsparseL23csr2csr_compress_kernelILi1024ELi128ELi8ELi64EdEEvii21rocsparse_index_base_PKT3_PKiS6_iS1_PS2_S6_PiNS_24const_host_device_scalarIS2_EEb ; -- Begin function _ZN9rocsparseL23csr2csr_compress_kernelILi1024ELi128ELi8ELi64EdEEvii21rocsparse_index_base_PKT3_PKiS6_iS1_PS2_S6_PiNS_24const_host_device_scalarIS2_EEb
	.p2align	8
	.type	_ZN9rocsparseL23csr2csr_compress_kernelILi1024ELi128ELi8ELi64EdEEvii21rocsparse_index_base_PKT3_PKiS6_iS1_PS2_S6_PiNS_24const_host_device_scalarIS2_EEb,@function
_ZN9rocsparseL23csr2csr_compress_kernelILi1024ELi128ELi8ELi64EdEEvii21rocsparse_index_base_PKT3_PKiS6_iS1_PS2_S6_PiNS_24const_host_device_scalarIS2_EEb: ; @_ZN9rocsparseL23csr2csr_compress_kernelILi1024ELi128ELi8ELi64EdEEvii21rocsparse_index_base_PKT3_PKiS6_iS1_PS2_S6_PiNS_24const_host_device_scalarIS2_EEb
; %bb.0:
	s_load_dword s2, s[4:5], 0x50
	s_load_dwordx2 s[0:1], s[4:5], 0x48
	s_waitcnt lgkmcnt(0)
	s_bitcmp1_b32 s2, 0
	s_cselect_b64 s[2:3], -1, 0
	v_mov_b32_e32 v2, s1
	s_and_b64 vcc, exec, s[2:3]
	v_mov_b32_e32 v1, s0
	s_cbranch_vccnz .LBB20_2
; %bb.1:
	v_mov_b32_e32 v2, s1
	v_mov_b32_e32 v1, s0
	flat_load_dwordx2 v[1:2], v[1:2]
.LBB20_2:
	s_load_dword s0, s[4:5], 0x0
	v_lshrrev_b32_e32 v3, 3, v0
	v_lshl_or_b32 v3, s6, 7, v3
	s_waitcnt lgkmcnt(0)
	v_cmp_gt_i32_e32 vcc, s0, v3
	s_and_saveexec_b64 s[0:1], vcc
	s_cbranch_execz .LBB20_8
; %bb.3:
	s_load_dwordx2 s[2:3], s[4:5], 0x18
	s_load_dword s0, s[4:5], 0x8
	v_ashrrev_i32_e32 v4, 31, v3
	v_lshlrev_b64 v[4:5], 2, v[3:4]
	s_waitcnt lgkmcnt(0)
	v_mov_b32_e32 v3, s3
	v_add_co_u32_e32 v6, vcc, s2, v4
	v_addc_co_u32_e32 v7, vcc, v3, v5, vcc
	global_load_dwordx2 v[7:8], v[6:7], off
	v_and_b32_e32 v6, 7, v0
	v_subrev_u32_e32 v3, s0, v6
	s_waitcnt vmcnt(0)
	v_subrev_u32_e32 v9, s0, v8
	v_add_u32_e32 v3, v7, v3
	v_cmp_lt_i32_e32 vcc, v3, v9
	s_and_b64 exec, exec, vcc
	s_cbranch_execz .LBB20_8
; %bb.4:
	s_load_dwordx4 s[8:11], s[4:5], 0x30
	s_load_dwordx2 s[2:3], s[4:5], 0x40
	v_and_b32_e32 v0, 56, v0
	s_mov_b32 s12, 0
	s_mov_b32 s13, 0x38100000
	s_waitcnt lgkmcnt(0)
	v_mov_b32_e32 v7, s11
	v_add_co_u32_e32 v4, vcc, s10, v4
	v_addc_co_u32_e32 v5, vcc, v7, v5, vcc
	global_load_dword v7, v[4:5], off
	s_load_dwordx2 s[6:7], s[4:5], 0x10
	s_load_dwordx2 s[10:11], s[4:5], 0x20
	s_load_dword s1, s[4:5], 0x2c
	v_not_b32_e32 v4, v6
	v_mov_b32_e32 v5, 0
	v_mbcnt_lo_u32_b32 v6, -1, 0
	v_lshrrev_b32_e64 v4, v4, -1
	v_mbcnt_hi_u32_b32 v8, -1, v6
	v_lshlrev_b64 v[5:6], v0, v[4:5]
	s_mov_b64 s[4:5], 0
	v_lshl_or_b32 v0, v8, 2, 28
	s_waitcnt lgkmcnt(0)
	s_sub_i32 s14, s1, s0
	v_mov_b32_e32 v11, s7
	s_waitcnt vmcnt(0)
	v_subrev_u32_e32 v10, s1, v7
	s_branch .LBB20_6
.LBB20_5:                               ;   in Loop: Header=BB20_6 Depth=1
	s_or_b64 exec, exec, s[0:1]
	ds_bpermute_b32 v4, v0, v12
	v_add_u32_e32 v3, 8, v3
	v_cmp_ge_i32_e32 vcc, v3, v9
	s_or_b64 s[4:5], vcc, s[4:5]
	s_waitcnt lgkmcnt(0)
	v_add_u32_e32 v10, v4, v10
	s_andn2_b64 exec, exec, s[4:5]
	s_cbranch_execz .LBB20_8
.LBB20_6:                               ; =>This Inner Loop Header: Depth=1
	v_ashrrev_i32_e32 v4, 31, v3
	v_lshlrev_b64 v[7:8], 3, v[3:4]
	v_add_co_u32_e32 v7, vcc, s6, v7
	v_addc_co_u32_e32 v8, vcc, v11, v8, vcc
	global_load_dwordx2 v[7:8], v[7:8], off
	s_waitcnt vmcnt(0)
	v_cmp_gt_f64_e32 vcc, 0, v[7:8]
	v_xor_b32_e32 v13, 0x80000000, v8
	v_mov_b32_e32 v12, v7
	v_cndmask_b32_e32 v13, v8, v13, vcc
	v_cmp_gt_f64_e32 vcc, v[12:13], v[1:2]
	v_cmp_lt_f64_e64 s[0:1], s[12:13], v[12:13]
	s_and_b64 s[16:17], vcc, s[0:1]
	v_cndmask_b32_e64 v12, 0, 1, s[16:17]
	v_cmp_ne_u32_e32 vcc, 0, v12
	v_and_b32_e32 v13, vcc_lo, v5
	v_and_b32_e32 v12, vcc_hi, v6
	v_bcnt_u32_b32 v13, v13, 0
	v_bcnt_u32_b32 v12, v12, v13
	s_and_saveexec_b64 s[0:1], s[16:17]
	s_cbranch_execz .LBB20_5
; %bb.7:                                ;   in Loop: Header=BB20_6 Depth=1
	v_lshlrev_b64 v[13:14], 2, v[3:4]
	v_mov_b32_e32 v4, s11
	v_add_co_u32_e32 v13, vcc, s10, v13
	v_addc_co_u32_e32 v14, vcc, v4, v14, vcc
	global_load_dword v4, v[13:14], off
	v_ashrrev_i32_e32 v14, 31, v10
	v_add_co_u32_e32 v13, vcc, v10, v12
	v_addc_co_u32_e32 v14, vcc, 0, v14, vcc
	v_lshlrev_b64 v[15:16], 3, v[13:14]
	v_mov_b32_e32 v17, s9
	v_lshlrev_b64 v[13:14], 2, v[13:14]
	v_add_co_u32_e32 v15, vcc, s8, v15
	v_addc_co_u32_e32 v16, vcc, v17, v16, vcc
	v_mov_b32_e32 v18, s3
	global_store_dwordx2 v[15:16], v[7:8], off offset:-8
	v_add_co_u32_e32 v7, vcc, s2, v13
	v_addc_co_u32_e32 v8, vcc, v18, v14, vcc
	s_waitcnt vmcnt(1)
	v_add_u32_e32 v4, s14, v4
	global_store_dword v[7:8], v4, off offset:-4
	s_branch .LBB20_5
.LBB20_8:
	s_endpgm
	.section	.rodata,"a",@progbits
	.p2align	6, 0x0
	.amdhsa_kernel _ZN9rocsparseL23csr2csr_compress_kernelILi1024ELi128ELi8ELi64EdEEvii21rocsparse_index_base_PKT3_PKiS6_iS1_PS2_S6_PiNS_24const_host_device_scalarIS2_EEb
		.amdhsa_group_segment_fixed_size 0
		.amdhsa_private_segment_fixed_size 0
		.amdhsa_kernarg_size 84
		.amdhsa_user_sgpr_count 6
		.amdhsa_user_sgpr_private_segment_buffer 1
		.amdhsa_user_sgpr_dispatch_ptr 0
		.amdhsa_user_sgpr_queue_ptr 0
		.amdhsa_user_sgpr_kernarg_segment_ptr 1
		.amdhsa_user_sgpr_dispatch_id 0
		.amdhsa_user_sgpr_flat_scratch_init 0
		.amdhsa_user_sgpr_private_segment_size 0
		.amdhsa_uses_dynamic_stack 0
		.amdhsa_system_sgpr_private_segment_wavefront_offset 0
		.amdhsa_system_sgpr_workgroup_id_x 1
		.amdhsa_system_sgpr_workgroup_id_y 0
		.amdhsa_system_sgpr_workgroup_id_z 0
		.amdhsa_system_sgpr_workgroup_info 0
		.amdhsa_system_vgpr_workitem_id 0
		.amdhsa_next_free_vgpr 19
		.amdhsa_next_free_sgpr 18
		.amdhsa_reserve_vcc 1
		.amdhsa_reserve_flat_scratch 0
		.amdhsa_float_round_mode_32 0
		.amdhsa_float_round_mode_16_64 0
		.amdhsa_float_denorm_mode_32 3
		.amdhsa_float_denorm_mode_16_64 3
		.amdhsa_dx10_clamp 1
		.amdhsa_ieee_mode 1
		.amdhsa_fp16_overflow 0
		.amdhsa_exception_fp_ieee_invalid_op 0
		.amdhsa_exception_fp_denorm_src 0
		.amdhsa_exception_fp_ieee_div_zero 0
		.amdhsa_exception_fp_ieee_overflow 0
		.amdhsa_exception_fp_ieee_underflow 0
		.amdhsa_exception_fp_ieee_inexact 0
		.amdhsa_exception_int_div_zero 0
	.end_amdhsa_kernel
	.section	.text._ZN9rocsparseL23csr2csr_compress_kernelILi1024ELi128ELi8ELi64EdEEvii21rocsparse_index_base_PKT3_PKiS6_iS1_PS2_S6_PiNS_24const_host_device_scalarIS2_EEb,"axG",@progbits,_ZN9rocsparseL23csr2csr_compress_kernelILi1024ELi128ELi8ELi64EdEEvii21rocsparse_index_base_PKT3_PKiS6_iS1_PS2_S6_PiNS_24const_host_device_scalarIS2_EEb,comdat
.Lfunc_end20:
	.size	_ZN9rocsparseL23csr2csr_compress_kernelILi1024ELi128ELi8ELi64EdEEvii21rocsparse_index_base_PKT3_PKiS6_iS1_PS2_S6_PiNS_24const_host_device_scalarIS2_EEb, .Lfunc_end20-_ZN9rocsparseL23csr2csr_compress_kernelILi1024ELi128ELi8ELi64EdEEvii21rocsparse_index_base_PKT3_PKiS6_iS1_PS2_S6_PiNS_24const_host_device_scalarIS2_EEb
                                        ; -- End function
	.set _ZN9rocsparseL23csr2csr_compress_kernelILi1024ELi128ELi8ELi64EdEEvii21rocsparse_index_base_PKT3_PKiS6_iS1_PS2_S6_PiNS_24const_host_device_scalarIS2_EEb.num_vgpr, 19
	.set _ZN9rocsparseL23csr2csr_compress_kernelILi1024ELi128ELi8ELi64EdEEvii21rocsparse_index_base_PKT3_PKiS6_iS1_PS2_S6_PiNS_24const_host_device_scalarIS2_EEb.num_agpr, 0
	.set _ZN9rocsparseL23csr2csr_compress_kernelILi1024ELi128ELi8ELi64EdEEvii21rocsparse_index_base_PKT3_PKiS6_iS1_PS2_S6_PiNS_24const_host_device_scalarIS2_EEb.numbered_sgpr, 18
	.set _ZN9rocsparseL23csr2csr_compress_kernelILi1024ELi128ELi8ELi64EdEEvii21rocsparse_index_base_PKT3_PKiS6_iS1_PS2_S6_PiNS_24const_host_device_scalarIS2_EEb.num_named_barrier, 0
	.set _ZN9rocsparseL23csr2csr_compress_kernelILi1024ELi128ELi8ELi64EdEEvii21rocsparse_index_base_PKT3_PKiS6_iS1_PS2_S6_PiNS_24const_host_device_scalarIS2_EEb.private_seg_size, 0
	.set _ZN9rocsparseL23csr2csr_compress_kernelILi1024ELi128ELi8ELi64EdEEvii21rocsparse_index_base_PKT3_PKiS6_iS1_PS2_S6_PiNS_24const_host_device_scalarIS2_EEb.uses_vcc, 1
	.set _ZN9rocsparseL23csr2csr_compress_kernelILi1024ELi128ELi8ELi64EdEEvii21rocsparse_index_base_PKT3_PKiS6_iS1_PS2_S6_PiNS_24const_host_device_scalarIS2_EEb.uses_flat_scratch, 0
	.set _ZN9rocsparseL23csr2csr_compress_kernelILi1024ELi128ELi8ELi64EdEEvii21rocsparse_index_base_PKT3_PKiS6_iS1_PS2_S6_PiNS_24const_host_device_scalarIS2_EEb.has_dyn_sized_stack, 0
	.set _ZN9rocsparseL23csr2csr_compress_kernelILi1024ELi128ELi8ELi64EdEEvii21rocsparse_index_base_PKT3_PKiS6_iS1_PS2_S6_PiNS_24const_host_device_scalarIS2_EEb.has_recursion, 0
	.set _ZN9rocsparseL23csr2csr_compress_kernelILi1024ELi128ELi8ELi64EdEEvii21rocsparse_index_base_PKT3_PKiS6_iS1_PS2_S6_PiNS_24const_host_device_scalarIS2_EEb.has_indirect_call, 0
	.section	.AMDGPU.csdata,"",@progbits
; Kernel info:
; codeLenInByte = 600
; TotalNumSgprs: 22
; NumVgprs: 19
; ScratchSize: 0
; MemoryBound: 0
; FloatMode: 240
; IeeeMode: 1
; LDSByteSize: 0 bytes/workgroup (compile time only)
; SGPRBlocks: 2
; VGPRBlocks: 4
; NumSGPRsForWavesPerEU: 22
; NumVGPRsForWavesPerEU: 19
; Occupancy: 10
; WaveLimiterHint : 0
; COMPUTE_PGM_RSRC2:SCRATCH_EN: 0
; COMPUTE_PGM_RSRC2:USER_SGPR: 6
; COMPUTE_PGM_RSRC2:TRAP_HANDLER: 0
; COMPUTE_PGM_RSRC2:TGID_X_EN: 1
; COMPUTE_PGM_RSRC2:TGID_Y_EN: 0
; COMPUTE_PGM_RSRC2:TGID_Z_EN: 0
; COMPUTE_PGM_RSRC2:TIDIG_COMP_CNT: 0
	.section	.text._ZN9rocsparseL23csr2csr_compress_kernelILi1024ELi64ELi16ELi64EdEEvii21rocsparse_index_base_PKT3_PKiS6_iS1_PS2_S6_PiNS_24const_host_device_scalarIS2_EEb,"axG",@progbits,_ZN9rocsparseL23csr2csr_compress_kernelILi1024ELi64ELi16ELi64EdEEvii21rocsparse_index_base_PKT3_PKiS6_iS1_PS2_S6_PiNS_24const_host_device_scalarIS2_EEb,comdat
	.globl	_ZN9rocsparseL23csr2csr_compress_kernelILi1024ELi64ELi16ELi64EdEEvii21rocsparse_index_base_PKT3_PKiS6_iS1_PS2_S6_PiNS_24const_host_device_scalarIS2_EEb ; -- Begin function _ZN9rocsparseL23csr2csr_compress_kernelILi1024ELi64ELi16ELi64EdEEvii21rocsparse_index_base_PKT3_PKiS6_iS1_PS2_S6_PiNS_24const_host_device_scalarIS2_EEb
	.p2align	8
	.type	_ZN9rocsparseL23csr2csr_compress_kernelILi1024ELi64ELi16ELi64EdEEvii21rocsparse_index_base_PKT3_PKiS6_iS1_PS2_S6_PiNS_24const_host_device_scalarIS2_EEb,@function
_ZN9rocsparseL23csr2csr_compress_kernelILi1024ELi64ELi16ELi64EdEEvii21rocsparse_index_base_PKT3_PKiS6_iS1_PS2_S6_PiNS_24const_host_device_scalarIS2_EEb: ; @_ZN9rocsparseL23csr2csr_compress_kernelILi1024ELi64ELi16ELi64EdEEvii21rocsparse_index_base_PKT3_PKiS6_iS1_PS2_S6_PiNS_24const_host_device_scalarIS2_EEb
; %bb.0:
	s_load_dword s2, s[4:5], 0x50
	s_load_dwordx2 s[0:1], s[4:5], 0x48
	s_waitcnt lgkmcnt(0)
	s_bitcmp1_b32 s2, 0
	s_cselect_b64 s[2:3], -1, 0
	v_mov_b32_e32 v2, s1
	s_and_b64 vcc, exec, s[2:3]
	v_mov_b32_e32 v1, s0
	s_cbranch_vccnz .LBB21_2
; %bb.1:
	v_mov_b32_e32 v2, s1
	v_mov_b32_e32 v1, s0
	flat_load_dwordx2 v[1:2], v[1:2]
.LBB21_2:
	s_load_dword s0, s[4:5], 0x0
	v_lshrrev_b32_e32 v3, 4, v0
	v_lshl_or_b32 v3, s6, 6, v3
	s_waitcnt lgkmcnt(0)
	v_cmp_gt_i32_e32 vcc, s0, v3
	s_and_saveexec_b64 s[0:1], vcc
	s_cbranch_execz .LBB21_8
; %bb.3:
	s_load_dwordx2 s[2:3], s[4:5], 0x18
	s_load_dword s0, s[4:5], 0x8
	v_ashrrev_i32_e32 v4, 31, v3
	v_lshlrev_b64 v[4:5], 2, v[3:4]
	s_waitcnt lgkmcnt(0)
	v_mov_b32_e32 v3, s3
	v_add_co_u32_e32 v6, vcc, s2, v4
	v_addc_co_u32_e32 v7, vcc, v3, v5, vcc
	global_load_dwordx2 v[7:8], v[6:7], off
	v_and_b32_e32 v6, 15, v0
	v_subrev_u32_e32 v3, s0, v6
	s_waitcnt vmcnt(0)
	v_subrev_u32_e32 v9, s0, v8
	v_add_u32_e32 v3, v7, v3
	v_cmp_lt_i32_e32 vcc, v3, v9
	s_and_b64 exec, exec, vcc
	s_cbranch_execz .LBB21_8
; %bb.4:
	s_load_dwordx4 s[8:11], s[4:5], 0x30
	s_load_dwordx2 s[2:3], s[4:5], 0x40
	v_and_b32_e32 v0, 48, v0
	s_mov_b32 s12, 0
	s_mov_b32 s13, 0x38100000
	s_waitcnt lgkmcnt(0)
	v_mov_b32_e32 v7, s11
	v_add_co_u32_e32 v4, vcc, s10, v4
	v_addc_co_u32_e32 v5, vcc, v7, v5, vcc
	global_load_dword v7, v[4:5], off
	s_load_dwordx2 s[6:7], s[4:5], 0x10
	s_load_dwordx2 s[10:11], s[4:5], 0x20
	s_load_dword s1, s[4:5], 0x2c
	v_not_b32_e32 v4, v6
	v_mov_b32_e32 v5, 0
	v_mbcnt_lo_u32_b32 v6, -1, 0
	v_lshrrev_b32_e64 v4, v4, -1
	v_mbcnt_hi_u32_b32 v8, -1, v6
	v_lshlrev_b64 v[5:6], v0, v[4:5]
	s_mov_b64 s[4:5], 0
	v_lshl_or_b32 v0, v8, 2, 60
	s_waitcnt lgkmcnt(0)
	s_sub_i32 s14, s1, s0
	v_mov_b32_e32 v11, s7
	s_waitcnt vmcnt(0)
	v_subrev_u32_e32 v10, s1, v7
	s_branch .LBB21_6
.LBB21_5:                               ;   in Loop: Header=BB21_6 Depth=1
	s_or_b64 exec, exec, s[0:1]
	ds_bpermute_b32 v4, v0, v12
	v_add_u32_e32 v3, 16, v3
	v_cmp_ge_i32_e32 vcc, v3, v9
	s_or_b64 s[4:5], vcc, s[4:5]
	s_waitcnt lgkmcnt(0)
	v_add_u32_e32 v10, v4, v10
	s_andn2_b64 exec, exec, s[4:5]
	s_cbranch_execz .LBB21_8
.LBB21_6:                               ; =>This Inner Loop Header: Depth=1
	v_ashrrev_i32_e32 v4, 31, v3
	v_lshlrev_b64 v[7:8], 3, v[3:4]
	v_add_co_u32_e32 v7, vcc, s6, v7
	v_addc_co_u32_e32 v8, vcc, v11, v8, vcc
	global_load_dwordx2 v[7:8], v[7:8], off
	s_waitcnt vmcnt(0)
	v_cmp_gt_f64_e32 vcc, 0, v[7:8]
	v_xor_b32_e32 v13, 0x80000000, v8
	v_mov_b32_e32 v12, v7
	v_cndmask_b32_e32 v13, v8, v13, vcc
	v_cmp_gt_f64_e32 vcc, v[12:13], v[1:2]
	v_cmp_lt_f64_e64 s[0:1], s[12:13], v[12:13]
	s_and_b64 s[16:17], vcc, s[0:1]
	v_cndmask_b32_e64 v12, 0, 1, s[16:17]
	v_cmp_ne_u32_e32 vcc, 0, v12
	v_and_b32_e32 v13, vcc_lo, v5
	v_and_b32_e32 v12, vcc_hi, v6
	v_bcnt_u32_b32 v13, v13, 0
	v_bcnt_u32_b32 v12, v12, v13
	s_and_saveexec_b64 s[0:1], s[16:17]
	s_cbranch_execz .LBB21_5
; %bb.7:                                ;   in Loop: Header=BB21_6 Depth=1
	v_lshlrev_b64 v[13:14], 2, v[3:4]
	v_mov_b32_e32 v4, s11
	v_add_co_u32_e32 v13, vcc, s10, v13
	v_addc_co_u32_e32 v14, vcc, v4, v14, vcc
	global_load_dword v4, v[13:14], off
	v_ashrrev_i32_e32 v14, 31, v10
	v_add_co_u32_e32 v13, vcc, v10, v12
	v_addc_co_u32_e32 v14, vcc, 0, v14, vcc
	v_lshlrev_b64 v[15:16], 3, v[13:14]
	v_mov_b32_e32 v17, s9
	v_lshlrev_b64 v[13:14], 2, v[13:14]
	v_add_co_u32_e32 v15, vcc, s8, v15
	v_addc_co_u32_e32 v16, vcc, v17, v16, vcc
	v_mov_b32_e32 v18, s3
	global_store_dwordx2 v[15:16], v[7:8], off offset:-8
	v_add_co_u32_e32 v7, vcc, s2, v13
	v_addc_co_u32_e32 v8, vcc, v18, v14, vcc
	s_waitcnt vmcnt(1)
	v_add_u32_e32 v4, s14, v4
	global_store_dword v[7:8], v4, off offset:-4
	s_branch .LBB21_5
.LBB21_8:
	s_endpgm
	.section	.rodata,"a",@progbits
	.p2align	6, 0x0
	.amdhsa_kernel _ZN9rocsparseL23csr2csr_compress_kernelILi1024ELi64ELi16ELi64EdEEvii21rocsparse_index_base_PKT3_PKiS6_iS1_PS2_S6_PiNS_24const_host_device_scalarIS2_EEb
		.amdhsa_group_segment_fixed_size 0
		.amdhsa_private_segment_fixed_size 0
		.amdhsa_kernarg_size 84
		.amdhsa_user_sgpr_count 6
		.amdhsa_user_sgpr_private_segment_buffer 1
		.amdhsa_user_sgpr_dispatch_ptr 0
		.amdhsa_user_sgpr_queue_ptr 0
		.amdhsa_user_sgpr_kernarg_segment_ptr 1
		.amdhsa_user_sgpr_dispatch_id 0
		.amdhsa_user_sgpr_flat_scratch_init 0
		.amdhsa_user_sgpr_private_segment_size 0
		.amdhsa_uses_dynamic_stack 0
		.amdhsa_system_sgpr_private_segment_wavefront_offset 0
		.amdhsa_system_sgpr_workgroup_id_x 1
		.amdhsa_system_sgpr_workgroup_id_y 0
		.amdhsa_system_sgpr_workgroup_id_z 0
		.amdhsa_system_sgpr_workgroup_info 0
		.amdhsa_system_vgpr_workitem_id 0
		.amdhsa_next_free_vgpr 19
		.amdhsa_next_free_sgpr 18
		.amdhsa_reserve_vcc 1
		.amdhsa_reserve_flat_scratch 0
		.amdhsa_float_round_mode_32 0
		.amdhsa_float_round_mode_16_64 0
		.amdhsa_float_denorm_mode_32 3
		.amdhsa_float_denorm_mode_16_64 3
		.amdhsa_dx10_clamp 1
		.amdhsa_ieee_mode 1
		.amdhsa_fp16_overflow 0
		.amdhsa_exception_fp_ieee_invalid_op 0
		.amdhsa_exception_fp_denorm_src 0
		.amdhsa_exception_fp_ieee_div_zero 0
		.amdhsa_exception_fp_ieee_overflow 0
		.amdhsa_exception_fp_ieee_underflow 0
		.amdhsa_exception_fp_ieee_inexact 0
		.amdhsa_exception_int_div_zero 0
	.end_amdhsa_kernel
	.section	.text._ZN9rocsparseL23csr2csr_compress_kernelILi1024ELi64ELi16ELi64EdEEvii21rocsparse_index_base_PKT3_PKiS6_iS1_PS2_S6_PiNS_24const_host_device_scalarIS2_EEb,"axG",@progbits,_ZN9rocsparseL23csr2csr_compress_kernelILi1024ELi64ELi16ELi64EdEEvii21rocsparse_index_base_PKT3_PKiS6_iS1_PS2_S6_PiNS_24const_host_device_scalarIS2_EEb,comdat
.Lfunc_end21:
	.size	_ZN9rocsparseL23csr2csr_compress_kernelILi1024ELi64ELi16ELi64EdEEvii21rocsparse_index_base_PKT3_PKiS6_iS1_PS2_S6_PiNS_24const_host_device_scalarIS2_EEb, .Lfunc_end21-_ZN9rocsparseL23csr2csr_compress_kernelILi1024ELi64ELi16ELi64EdEEvii21rocsparse_index_base_PKT3_PKiS6_iS1_PS2_S6_PiNS_24const_host_device_scalarIS2_EEb
                                        ; -- End function
	.set _ZN9rocsparseL23csr2csr_compress_kernelILi1024ELi64ELi16ELi64EdEEvii21rocsparse_index_base_PKT3_PKiS6_iS1_PS2_S6_PiNS_24const_host_device_scalarIS2_EEb.num_vgpr, 19
	.set _ZN9rocsparseL23csr2csr_compress_kernelILi1024ELi64ELi16ELi64EdEEvii21rocsparse_index_base_PKT3_PKiS6_iS1_PS2_S6_PiNS_24const_host_device_scalarIS2_EEb.num_agpr, 0
	.set _ZN9rocsparseL23csr2csr_compress_kernelILi1024ELi64ELi16ELi64EdEEvii21rocsparse_index_base_PKT3_PKiS6_iS1_PS2_S6_PiNS_24const_host_device_scalarIS2_EEb.numbered_sgpr, 18
	.set _ZN9rocsparseL23csr2csr_compress_kernelILi1024ELi64ELi16ELi64EdEEvii21rocsparse_index_base_PKT3_PKiS6_iS1_PS2_S6_PiNS_24const_host_device_scalarIS2_EEb.num_named_barrier, 0
	.set _ZN9rocsparseL23csr2csr_compress_kernelILi1024ELi64ELi16ELi64EdEEvii21rocsparse_index_base_PKT3_PKiS6_iS1_PS2_S6_PiNS_24const_host_device_scalarIS2_EEb.private_seg_size, 0
	.set _ZN9rocsparseL23csr2csr_compress_kernelILi1024ELi64ELi16ELi64EdEEvii21rocsparse_index_base_PKT3_PKiS6_iS1_PS2_S6_PiNS_24const_host_device_scalarIS2_EEb.uses_vcc, 1
	.set _ZN9rocsparseL23csr2csr_compress_kernelILi1024ELi64ELi16ELi64EdEEvii21rocsparse_index_base_PKT3_PKiS6_iS1_PS2_S6_PiNS_24const_host_device_scalarIS2_EEb.uses_flat_scratch, 0
	.set _ZN9rocsparseL23csr2csr_compress_kernelILi1024ELi64ELi16ELi64EdEEvii21rocsparse_index_base_PKT3_PKiS6_iS1_PS2_S6_PiNS_24const_host_device_scalarIS2_EEb.has_dyn_sized_stack, 0
	.set _ZN9rocsparseL23csr2csr_compress_kernelILi1024ELi64ELi16ELi64EdEEvii21rocsparse_index_base_PKT3_PKiS6_iS1_PS2_S6_PiNS_24const_host_device_scalarIS2_EEb.has_recursion, 0
	.set _ZN9rocsparseL23csr2csr_compress_kernelILi1024ELi64ELi16ELi64EdEEvii21rocsparse_index_base_PKT3_PKiS6_iS1_PS2_S6_PiNS_24const_host_device_scalarIS2_EEb.has_indirect_call, 0
	.section	.AMDGPU.csdata,"",@progbits
; Kernel info:
; codeLenInByte = 600
; TotalNumSgprs: 22
; NumVgprs: 19
; ScratchSize: 0
; MemoryBound: 0
; FloatMode: 240
; IeeeMode: 1
; LDSByteSize: 0 bytes/workgroup (compile time only)
; SGPRBlocks: 2
; VGPRBlocks: 4
; NumSGPRsForWavesPerEU: 22
; NumVGPRsForWavesPerEU: 19
; Occupancy: 10
; WaveLimiterHint : 0
; COMPUTE_PGM_RSRC2:SCRATCH_EN: 0
; COMPUTE_PGM_RSRC2:USER_SGPR: 6
; COMPUTE_PGM_RSRC2:TRAP_HANDLER: 0
; COMPUTE_PGM_RSRC2:TGID_X_EN: 1
; COMPUTE_PGM_RSRC2:TGID_Y_EN: 0
; COMPUTE_PGM_RSRC2:TGID_Z_EN: 0
; COMPUTE_PGM_RSRC2:TIDIG_COMP_CNT: 0
	.section	.text._ZN9rocsparseL23csr2csr_compress_kernelILi1024ELi32ELi32ELi64EdEEvii21rocsparse_index_base_PKT3_PKiS6_iS1_PS2_S6_PiNS_24const_host_device_scalarIS2_EEb,"axG",@progbits,_ZN9rocsparseL23csr2csr_compress_kernelILi1024ELi32ELi32ELi64EdEEvii21rocsparse_index_base_PKT3_PKiS6_iS1_PS2_S6_PiNS_24const_host_device_scalarIS2_EEb,comdat
	.globl	_ZN9rocsparseL23csr2csr_compress_kernelILi1024ELi32ELi32ELi64EdEEvii21rocsparse_index_base_PKT3_PKiS6_iS1_PS2_S6_PiNS_24const_host_device_scalarIS2_EEb ; -- Begin function _ZN9rocsparseL23csr2csr_compress_kernelILi1024ELi32ELi32ELi64EdEEvii21rocsparse_index_base_PKT3_PKiS6_iS1_PS2_S6_PiNS_24const_host_device_scalarIS2_EEb
	.p2align	8
	.type	_ZN9rocsparseL23csr2csr_compress_kernelILi1024ELi32ELi32ELi64EdEEvii21rocsparse_index_base_PKT3_PKiS6_iS1_PS2_S6_PiNS_24const_host_device_scalarIS2_EEb,@function
_ZN9rocsparseL23csr2csr_compress_kernelILi1024ELi32ELi32ELi64EdEEvii21rocsparse_index_base_PKT3_PKiS6_iS1_PS2_S6_PiNS_24const_host_device_scalarIS2_EEb: ; @_ZN9rocsparseL23csr2csr_compress_kernelILi1024ELi32ELi32ELi64EdEEvii21rocsparse_index_base_PKT3_PKiS6_iS1_PS2_S6_PiNS_24const_host_device_scalarIS2_EEb
; %bb.0:
	s_load_dword s2, s[4:5], 0x50
	s_load_dwordx2 s[0:1], s[4:5], 0x48
	s_waitcnt lgkmcnt(0)
	s_bitcmp1_b32 s2, 0
	s_cselect_b64 s[2:3], -1, 0
	v_mov_b32_e32 v2, s1
	s_and_b64 vcc, exec, s[2:3]
	v_mov_b32_e32 v1, s0
	s_cbranch_vccnz .LBB22_2
; %bb.1:
	v_mov_b32_e32 v2, s1
	v_mov_b32_e32 v1, s0
	flat_load_dwordx2 v[1:2], v[1:2]
.LBB22_2:
	s_load_dword s0, s[4:5], 0x0
	v_lshrrev_b32_e32 v3, 5, v0
	v_lshl_or_b32 v3, s6, 5, v3
	s_waitcnt lgkmcnt(0)
	v_cmp_gt_i32_e32 vcc, s0, v3
	s_and_saveexec_b64 s[0:1], vcc
	s_cbranch_execz .LBB22_8
; %bb.3:
	s_load_dwordx2 s[2:3], s[4:5], 0x18
	s_load_dword s0, s[4:5], 0x8
	v_ashrrev_i32_e32 v4, 31, v3
	v_lshlrev_b64 v[4:5], 2, v[3:4]
	s_waitcnt lgkmcnt(0)
	v_mov_b32_e32 v3, s3
	v_add_co_u32_e32 v6, vcc, s2, v4
	v_addc_co_u32_e32 v7, vcc, v3, v5, vcc
	global_load_dwordx2 v[7:8], v[6:7], off
	v_and_b32_e32 v6, 31, v0
	v_subrev_u32_e32 v3, s0, v6
	s_waitcnt vmcnt(0)
	v_subrev_u32_e32 v9, s0, v8
	v_add_u32_e32 v3, v7, v3
	v_cmp_lt_i32_e32 vcc, v3, v9
	s_and_b64 exec, exec, vcc
	s_cbranch_execz .LBB22_8
; %bb.4:
	s_load_dwordx4 s[8:11], s[4:5], 0x30
	s_load_dwordx2 s[2:3], s[4:5], 0x40
	v_and_b32_e32 v0, 32, v0
	v_mov_b32_e32 v8, 0x7c
	s_mov_b32 s12, 0
	s_waitcnt lgkmcnt(0)
	v_mov_b32_e32 v7, s11
	v_add_co_u32_e32 v4, vcc, s10, v4
	v_addc_co_u32_e32 v5, vcc, v7, v5, vcc
	global_load_dword v7, v[4:5], off
	s_load_dwordx2 s[6:7], s[4:5], 0x10
	s_load_dwordx2 s[10:11], s[4:5], 0x20
	s_load_dword s1, s[4:5], 0x2c
	v_xor_b32_e32 v4, 31, v6
	v_mov_b32_e32 v5, 0
	v_mbcnt_lo_u32_b32 v6, -1, 0
	v_lshrrev_b32_e64 v4, v4, -1
	v_mbcnt_hi_u32_b32 v10, -1, v6
	v_lshlrev_b64 v[5:6], v0, v[4:5]
	s_mov_b64 s[4:5], 0
	s_mov_b32 s13, 0x38100000
	v_lshl_or_b32 v0, v10, 2, v8
	s_waitcnt lgkmcnt(0)
	s_sub_i32 s14, s1, s0
	v_mov_b32_e32 v11, s7
	s_waitcnt vmcnt(0)
	v_subrev_u32_e32 v10, s1, v7
	s_branch .LBB22_6
.LBB22_5:                               ;   in Loop: Header=BB22_6 Depth=1
	s_or_b64 exec, exec, s[0:1]
	ds_bpermute_b32 v4, v0, v12
	v_add_u32_e32 v3, 32, v3
	v_cmp_ge_i32_e32 vcc, v3, v9
	s_or_b64 s[4:5], vcc, s[4:5]
	s_waitcnt lgkmcnt(0)
	v_add_u32_e32 v10, v4, v10
	s_andn2_b64 exec, exec, s[4:5]
	s_cbranch_execz .LBB22_8
.LBB22_6:                               ; =>This Inner Loop Header: Depth=1
	v_ashrrev_i32_e32 v4, 31, v3
	v_lshlrev_b64 v[7:8], 3, v[3:4]
	v_add_co_u32_e32 v7, vcc, s6, v7
	v_addc_co_u32_e32 v8, vcc, v11, v8, vcc
	global_load_dwordx2 v[7:8], v[7:8], off
	s_waitcnt vmcnt(0)
	v_cmp_gt_f64_e32 vcc, 0, v[7:8]
	v_xor_b32_e32 v13, 0x80000000, v8
	v_mov_b32_e32 v12, v7
	v_cndmask_b32_e32 v13, v8, v13, vcc
	v_cmp_gt_f64_e32 vcc, v[12:13], v[1:2]
	v_cmp_lt_f64_e64 s[0:1], s[12:13], v[12:13]
	s_and_b64 s[16:17], vcc, s[0:1]
	v_cndmask_b32_e64 v12, 0, 1, s[16:17]
	v_cmp_ne_u32_e32 vcc, 0, v12
	v_and_b32_e32 v13, vcc_lo, v5
	v_and_b32_e32 v12, vcc_hi, v6
	v_bcnt_u32_b32 v13, v13, 0
	v_bcnt_u32_b32 v12, v12, v13
	s_and_saveexec_b64 s[0:1], s[16:17]
	s_cbranch_execz .LBB22_5
; %bb.7:                                ;   in Loop: Header=BB22_6 Depth=1
	v_lshlrev_b64 v[13:14], 2, v[3:4]
	v_mov_b32_e32 v4, s11
	v_add_co_u32_e32 v13, vcc, s10, v13
	v_addc_co_u32_e32 v14, vcc, v4, v14, vcc
	global_load_dword v4, v[13:14], off
	v_ashrrev_i32_e32 v14, 31, v10
	v_add_co_u32_e32 v13, vcc, v10, v12
	v_addc_co_u32_e32 v14, vcc, 0, v14, vcc
	v_lshlrev_b64 v[15:16], 3, v[13:14]
	v_mov_b32_e32 v17, s9
	v_lshlrev_b64 v[13:14], 2, v[13:14]
	v_add_co_u32_e32 v15, vcc, s8, v15
	v_addc_co_u32_e32 v16, vcc, v17, v16, vcc
	v_mov_b32_e32 v18, s3
	global_store_dwordx2 v[15:16], v[7:8], off offset:-8
	v_add_co_u32_e32 v7, vcc, s2, v13
	v_addc_co_u32_e32 v8, vcc, v18, v14, vcc
	s_waitcnt vmcnt(1)
	v_add_u32_e32 v4, s14, v4
	global_store_dword v[7:8], v4, off offset:-4
	s_branch .LBB22_5
.LBB22_8:
	s_endpgm
	.section	.rodata,"a",@progbits
	.p2align	6, 0x0
	.amdhsa_kernel _ZN9rocsparseL23csr2csr_compress_kernelILi1024ELi32ELi32ELi64EdEEvii21rocsparse_index_base_PKT3_PKiS6_iS1_PS2_S6_PiNS_24const_host_device_scalarIS2_EEb
		.amdhsa_group_segment_fixed_size 0
		.amdhsa_private_segment_fixed_size 0
		.amdhsa_kernarg_size 84
		.amdhsa_user_sgpr_count 6
		.amdhsa_user_sgpr_private_segment_buffer 1
		.amdhsa_user_sgpr_dispatch_ptr 0
		.amdhsa_user_sgpr_queue_ptr 0
		.amdhsa_user_sgpr_kernarg_segment_ptr 1
		.amdhsa_user_sgpr_dispatch_id 0
		.amdhsa_user_sgpr_flat_scratch_init 0
		.amdhsa_user_sgpr_private_segment_size 0
		.amdhsa_uses_dynamic_stack 0
		.amdhsa_system_sgpr_private_segment_wavefront_offset 0
		.amdhsa_system_sgpr_workgroup_id_x 1
		.amdhsa_system_sgpr_workgroup_id_y 0
		.amdhsa_system_sgpr_workgroup_id_z 0
		.amdhsa_system_sgpr_workgroup_info 0
		.amdhsa_system_vgpr_workitem_id 0
		.amdhsa_next_free_vgpr 19
		.amdhsa_next_free_sgpr 18
		.amdhsa_reserve_vcc 1
		.amdhsa_reserve_flat_scratch 0
		.amdhsa_float_round_mode_32 0
		.amdhsa_float_round_mode_16_64 0
		.amdhsa_float_denorm_mode_32 3
		.amdhsa_float_denorm_mode_16_64 3
		.amdhsa_dx10_clamp 1
		.amdhsa_ieee_mode 1
		.amdhsa_fp16_overflow 0
		.amdhsa_exception_fp_ieee_invalid_op 0
		.amdhsa_exception_fp_denorm_src 0
		.amdhsa_exception_fp_ieee_div_zero 0
		.amdhsa_exception_fp_ieee_overflow 0
		.amdhsa_exception_fp_ieee_underflow 0
		.amdhsa_exception_fp_ieee_inexact 0
		.amdhsa_exception_int_div_zero 0
	.end_amdhsa_kernel
	.section	.text._ZN9rocsparseL23csr2csr_compress_kernelILi1024ELi32ELi32ELi64EdEEvii21rocsparse_index_base_PKT3_PKiS6_iS1_PS2_S6_PiNS_24const_host_device_scalarIS2_EEb,"axG",@progbits,_ZN9rocsparseL23csr2csr_compress_kernelILi1024ELi32ELi32ELi64EdEEvii21rocsparse_index_base_PKT3_PKiS6_iS1_PS2_S6_PiNS_24const_host_device_scalarIS2_EEb,comdat
.Lfunc_end22:
	.size	_ZN9rocsparseL23csr2csr_compress_kernelILi1024ELi32ELi32ELi64EdEEvii21rocsparse_index_base_PKT3_PKiS6_iS1_PS2_S6_PiNS_24const_host_device_scalarIS2_EEb, .Lfunc_end22-_ZN9rocsparseL23csr2csr_compress_kernelILi1024ELi32ELi32ELi64EdEEvii21rocsparse_index_base_PKT3_PKiS6_iS1_PS2_S6_PiNS_24const_host_device_scalarIS2_EEb
                                        ; -- End function
	.set _ZN9rocsparseL23csr2csr_compress_kernelILi1024ELi32ELi32ELi64EdEEvii21rocsparse_index_base_PKT3_PKiS6_iS1_PS2_S6_PiNS_24const_host_device_scalarIS2_EEb.num_vgpr, 19
	.set _ZN9rocsparseL23csr2csr_compress_kernelILi1024ELi32ELi32ELi64EdEEvii21rocsparse_index_base_PKT3_PKiS6_iS1_PS2_S6_PiNS_24const_host_device_scalarIS2_EEb.num_agpr, 0
	.set _ZN9rocsparseL23csr2csr_compress_kernelILi1024ELi32ELi32ELi64EdEEvii21rocsparse_index_base_PKT3_PKiS6_iS1_PS2_S6_PiNS_24const_host_device_scalarIS2_EEb.numbered_sgpr, 18
	.set _ZN9rocsparseL23csr2csr_compress_kernelILi1024ELi32ELi32ELi64EdEEvii21rocsparse_index_base_PKT3_PKiS6_iS1_PS2_S6_PiNS_24const_host_device_scalarIS2_EEb.num_named_barrier, 0
	.set _ZN9rocsparseL23csr2csr_compress_kernelILi1024ELi32ELi32ELi64EdEEvii21rocsparse_index_base_PKT3_PKiS6_iS1_PS2_S6_PiNS_24const_host_device_scalarIS2_EEb.private_seg_size, 0
	.set _ZN9rocsparseL23csr2csr_compress_kernelILi1024ELi32ELi32ELi64EdEEvii21rocsparse_index_base_PKT3_PKiS6_iS1_PS2_S6_PiNS_24const_host_device_scalarIS2_EEb.uses_vcc, 1
	.set _ZN9rocsparseL23csr2csr_compress_kernelILi1024ELi32ELi32ELi64EdEEvii21rocsparse_index_base_PKT3_PKiS6_iS1_PS2_S6_PiNS_24const_host_device_scalarIS2_EEb.uses_flat_scratch, 0
	.set _ZN9rocsparseL23csr2csr_compress_kernelILi1024ELi32ELi32ELi64EdEEvii21rocsparse_index_base_PKT3_PKiS6_iS1_PS2_S6_PiNS_24const_host_device_scalarIS2_EEb.has_dyn_sized_stack, 0
	.set _ZN9rocsparseL23csr2csr_compress_kernelILi1024ELi32ELi32ELi64EdEEvii21rocsparse_index_base_PKT3_PKiS6_iS1_PS2_S6_PiNS_24const_host_device_scalarIS2_EEb.has_recursion, 0
	.set _ZN9rocsparseL23csr2csr_compress_kernelILi1024ELi32ELi32ELi64EdEEvii21rocsparse_index_base_PKT3_PKiS6_iS1_PS2_S6_PiNS_24const_host_device_scalarIS2_EEb.has_indirect_call, 0
	.section	.AMDGPU.csdata,"",@progbits
; Kernel info:
; codeLenInByte = 608
; TotalNumSgprs: 22
; NumVgprs: 19
; ScratchSize: 0
; MemoryBound: 0
; FloatMode: 240
; IeeeMode: 1
; LDSByteSize: 0 bytes/workgroup (compile time only)
; SGPRBlocks: 2
; VGPRBlocks: 4
; NumSGPRsForWavesPerEU: 22
; NumVGPRsForWavesPerEU: 19
; Occupancy: 10
; WaveLimiterHint : 0
; COMPUTE_PGM_RSRC2:SCRATCH_EN: 0
; COMPUTE_PGM_RSRC2:USER_SGPR: 6
; COMPUTE_PGM_RSRC2:TRAP_HANDLER: 0
; COMPUTE_PGM_RSRC2:TGID_X_EN: 1
; COMPUTE_PGM_RSRC2:TGID_Y_EN: 0
; COMPUTE_PGM_RSRC2:TGID_Z_EN: 0
; COMPUTE_PGM_RSRC2:TIDIG_COMP_CNT: 0
	.section	.text._ZN9rocsparseL23csr2csr_compress_kernelILi1024ELi16ELi64ELi64EdEEvii21rocsparse_index_base_PKT3_PKiS6_iS1_PS2_S6_PiNS_24const_host_device_scalarIS2_EEb,"axG",@progbits,_ZN9rocsparseL23csr2csr_compress_kernelILi1024ELi16ELi64ELi64EdEEvii21rocsparse_index_base_PKT3_PKiS6_iS1_PS2_S6_PiNS_24const_host_device_scalarIS2_EEb,comdat
	.globl	_ZN9rocsparseL23csr2csr_compress_kernelILi1024ELi16ELi64ELi64EdEEvii21rocsparse_index_base_PKT3_PKiS6_iS1_PS2_S6_PiNS_24const_host_device_scalarIS2_EEb ; -- Begin function _ZN9rocsparseL23csr2csr_compress_kernelILi1024ELi16ELi64ELi64EdEEvii21rocsparse_index_base_PKT3_PKiS6_iS1_PS2_S6_PiNS_24const_host_device_scalarIS2_EEb
	.p2align	8
	.type	_ZN9rocsparseL23csr2csr_compress_kernelILi1024ELi16ELi64ELi64EdEEvii21rocsparse_index_base_PKT3_PKiS6_iS1_PS2_S6_PiNS_24const_host_device_scalarIS2_EEb,@function
_ZN9rocsparseL23csr2csr_compress_kernelILi1024ELi16ELi64ELi64EdEEvii21rocsparse_index_base_PKT3_PKiS6_iS1_PS2_S6_PiNS_24const_host_device_scalarIS2_EEb: ; @_ZN9rocsparseL23csr2csr_compress_kernelILi1024ELi16ELi64ELi64EdEEvii21rocsparse_index_base_PKT3_PKiS6_iS1_PS2_S6_PiNS_24const_host_device_scalarIS2_EEb
; %bb.0:
	s_load_dword s2, s[4:5], 0x50
	s_load_dwordx2 s[0:1], s[4:5], 0x48
	s_waitcnt lgkmcnt(0)
	s_bitcmp1_b32 s2, 0
	s_cselect_b64 s[2:3], -1, 0
	v_mov_b32_e32 v2, s1
	s_and_b64 vcc, exec, s[2:3]
	v_mov_b32_e32 v1, s0
	s_cbranch_vccnz .LBB23_2
; %bb.1:
	v_mov_b32_e32 v2, s1
	v_mov_b32_e32 v1, s0
	flat_load_dwordx2 v[1:2], v[1:2]
.LBB23_2:
	s_load_dword s0, s[4:5], 0x0
	v_lshrrev_b32_e32 v3, 6, v0
	v_lshl_or_b32 v3, s6, 4, v3
	s_waitcnt lgkmcnt(0)
	v_cmp_gt_i32_e32 vcc, s0, v3
	s_and_saveexec_b64 s[0:1], vcc
	s_cbranch_execz .LBB23_8
; %bb.3:
	s_load_dwordx2 s[2:3], s[4:5], 0x18
	s_load_dword s0, s[4:5], 0x8
	v_ashrrev_i32_e32 v4, 31, v3
	v_lshlrev_b64 v[4:5], 2, v[3:4]
	s_waitcnt lgkmcnt(0)
	v_mov_b32_e32 v3, s3
	v_add_co_u32_e32 v6, vcc, s2, v4
	v_addc_co_u32_e32 v7, vcc, v3, v5, vcc
	global_load_dwordx2 v[7:8], v[6:7], off
	v_and_b32_e32 v6, 63, v0
	v_subrev_u32_e32 v3, s0, v6
	s_waitcnt vmcnt(0)
	v_subrev_u32_e32 v0, s0, v8
	v_add_u32_e32 v3, v7, v3
	v_cmp_lt_i32_e32 vcc, v3, v0
	s_and_b64 exec, exec, vcc
	s_cbranch_execz .LBB23_8
; %bb.4:
	s_load_dwordx4 s[8:11], s[4:5], 0x30
	s_load_dwordx2 s[2:3], s[4:5], 0x40
	v_bfrev_b32_e32 v8, 0.5
	s_mov_b32 s12, 0
	s_mov_b32 s13, 0x38100000
	s_waitcnt lgkmcnt(0)
	v_mov_b32_e32 v7, s11
	v_add_co_u32_e32 v4, vcc, s10, v4
	v_addc_co_u32_e32 v5, vcc, v7, v5, vcc
	global_load_dword v4, v[4:5], off
	s_load_dwordx2 s[6:7], s[4:5], 0x10
	s_load_dwordx2 s[10:11], s[4:5], 0x20
	s_load_dword s1, s[4:5], 0x2c
	v_xor_b32_e32 v5, 63, v6
	v_mbcnt_lo_u32_b32 v7, -1, 0
	v_lshrrev_b64 v[5:6], v5, -1
	v_mbcnt_hi_u32_b32 v7, -1, v7
	s_mov_b64 s[4:5], 0
	v_lshl_or_b32 v9, v7, 2, v8
	s_waitcnt lgkmcnt(0)
	s_sub_i32 s14, s1, s0
	v_mov_b32_e32 v11, s7
	s_waitcnt vmcnt(0)
	v_subrev_u32_e32 v10, s1, v4
	s_branch .LBB23_6
.LBB23_5:                               ;   in Loop: Header=BB23_6 Depth=1
	s_or_b64 exec, exec, s[0:1]
	ds_bpermute_b32 v4, v9, v12
	v_add_u32_e32 v3, 64, v3
	v_cmp_ge_i32_e32 vcc, v3, v0
	s_or_b64 s[4:5], vcc, s[4:5]
	s_waitcnt lgkmcnt(0)
	v_add_u32_e32 v10, v4, v10
	s_andn2_b64 exec, exec, s[4:5]
	s_cbranch_execz .LBB23_8
.LBB23_6:                               ; =>This Inner Loop Header: Depth=1
	v_ashrrev_i32_e32 v4, 31, v3
	v_lshlrev_b64 v[7:8], 3, v[3:4]
	v_add_co_u32_e32 v7, vcc, s6, v7
	v_addc_co_u32_e32 v8, vcc, v11, v8, vcc
	global_load_dwordx2 v[7:8], v[7:8], off
	s_waitcnt vmcnt(0)
	v_cmp_gt_f64_e32 vcc, 0, v[7:8]
	v_xor_b32_e32 v13, 0x80000000, v8
	v_mov_b32_e32 v12, v7
	v_cndmask_b32_e32 v13, v8, v13, vcc
	v_cmp_gt_f64_e32 vcc, v[12:13], v[1:2]
	v_cmp_lt_f64_e64 s[0:1], s[12:13], v[12:13]
	s_and_b64 s[16:17], vcc, s[0:1]
	v_cndmask_b32_e64 v12, 0, 1, s[16:17]
	v_cmp_ne_u32_e32 vcc, 0, v12
	v_and_b32_e32 v13, vcc_lo, v5
	v_and_b32_e32 v12, vcc_hi, v6
	v_bcnt_u32_b32 v13, v13, 0
	v_bcnt_u32_b32 v12, v12, v13
	s_and_saveexec_b64 s[0:1], s[16:17]
	s_cbranch_execz .LBB23_5
; %bb.7:                                ;   in Loop: Header=BB23_6 Depth=1
	v_lshlrev_b64 v[13:14], 2, v[3:4]
	v_mov_b32_e32 v4, s11
	v_add_co_u32_e32 v13, vcc, s10, v13
	v_addc_co_u32_e32 v14, vcc, v4, v14, vcc
	global_load_dword v4, v[13:14], off
	v_ashrrev_i32_e32 v14, 31, v10
	v_add_co_u32_e32 v13, vcc, v10, v12
	v_addc_co_u32_e32 v14, vcc, 0, v14, vcc
	v_lshlrev_b64 v[15:16], 3, v[13:14]
	v_mov_b32_e32 v17, s9
	v_lshlrev_b64 v[13:14], 2, v[13:14]
	v_add_co_u32_e32 v15, vcc, s8, v15
	v_addc_co_u32_e32 v16, vcc, v17, v16, vcc
	v_mov_b32_e32 v18, s3
	global_store_dwordx2 v[15:16], v[7:8], off offset:-8
	v_add_co_u32_e32 v7, vcc, s2, v13
	v_addc_co_u32_e32 v8, vcc, v18, v14, vcc
	s_waitcnt vmcnt(1)
	v_add_u32_e32 v4, s14, v4
	global_store_dword v[7:8], v4, off offset:-4
	s_branch .LBB23_5
.LBB23_8:
	s_endpgm
	.section	.rodata,"a",@progbits
	.p2align	6, 0x0
	.amdhsa_kernel _ZN9rocsparseL23csr2csr_compress_kernelILi1024ELi16ELi64ELi64EdEEvii21rocsparse_index_base_PKT3_PKiS6_iS1_PS2_S6_PiNS_24const_host_device_scalarIS2_EEb
		.amdhsa_group_segment_fixed_size 0
		.amdhsa_private_segment_fixed_size 0
		.amdhsa_kernarg_size 84
		.amdhsa_user_sgpr_count 6
		.amdhsa_user_sgpr_private_segment_buffer 1
		.amdhsa_user_sgpr_dispatch_ptr 0
		.amdhsa_user_sgpr_queue_ptr 0
		.amdhsa_user_sgpr_kernarg_segment_ptr 1
		.amdhsa_user_sgpr_dispatch_id 0
		.amdhsa_user_sgpr_flat_scratch_init 0
		.amdhsa_user_sgpr_private_segment_size 0
		.amdhsa_uses_dynamic_stack 0
		.amdhsa_system_sgpr_private_segment_wavefront_offset 0
		.amdhsa_system_sgpr_workgroup_id_x 1
		.amdhsa_system_sgpr_workgroup_id_y 0
		.amdhsa_system_sgpr_workgroup_id_z 0
		.amdhsa_system_sgpr_workgroup_info 0
		.amdhsa_system_vgpr_workitem_id 0
		.amdhsa_next_free_vgpr 19
		.amdhsa_next_free_sgpr 18
		.amdhsa_reserve_vcc 1
		.amdhsa_reserve_flat_scratch 0
		.amdhsa_float_round_mode_32 0
		.amdhsa_float_round_mode_16_64 0
		.amdhsa_float_denorm_mode_32 3
		.amdhsa_float_denorm_mode_16_64 3
		.amdhsa_dx10_clamp 1
		.amdhsa_ieee_mode 1
		.amdhsa_fp16_overflow 0
		.amdhsa_exception_fp_ieee_invalid_op 0
		.amdhsa_exception_fp_denorm_src 0
		.amdhsa_exception_fp_ieee_div_zero 0
		.amdhsa_exception_fp_ieee_overflow 0
		.amdhsa_exception_fp_ieee_underflow 0
		.amdhsa_exception_fp_ieee_inexact 0
		.amdhsa_exception_int_div_zero 0
	.end_amdhsa_kernel
	.section	.text._ZN9rocsparseL23csr2csr_compress_kernelILi1024ELi16ELi64ELi64EdEEvii21rocsparse_index_base_PKT3_PKiS6_iS1_PS2_S6_PiNS_24const_host_device_scalarIS2_EEb,"axG",@progbits,_ZN9rocsparseL23csr2csr_compress_kernelILi1024ELi16ELi64ELi64EdEEvii21rocsparse_index_base_PKT3_PKiS6_iS1_PS2_S6_PiNS_24const_host_device_scalarIS2_EEb,comdat
.Lfunc_end23:
	.size	_ZN9rocsparseL23csr2csr_compress_kernelILi1024ELi16ELi64ELi64EdEEvii21rocsparse_index_base_PKT3_PKiS6_iS1_PS2_S6_PiNS_24const_host_device_scalarIS2_EEb, .Lfunc_end23-_ZN9rocsparseL23csr2csr_compress_kernelILi1024ELi16ELi64ELi64EdEEvii21rocsparse_index_base_PKT3_PKiS6_iS1_PS2_S6_PiNS_24const_host_device_scalarIS2_EEb
                                        ; -- End function
	.set _ZN9rocsparseL23csr2csr_compress_kernelILi1024ELi16ELi64ELi64EdEEvii21rocsparse_index_base_PKT3_PKiS6_iS1_PS2_S6_PiNS_24const_host_device_scalarIS2_EEb.num_vgpr, 19
	.set _ZN9rocsparseL23csr2csr_compress_kernelILi1024ELi16ELi64ELi64EdEEvii21rocsparse_index_base_PKT3_PKiS6_iS1_PS2_S6_PiNS_24const_host_device_scalarIS2_EEb.num_agpr, 0
	.set _ZN9rocsparseL23csr2csr_compress_kernelILi1024ELi16ELi64ELi64EdEEvii21rocsparse_index_base_PKT3_PKiS6_iS1_PS2_S6_PiNS_24const_host_device_scalarIS2_EEb.numbered_sgpr, 18
	.set _ZN9rocsparseL23csr2csr_compress_kernelILi1024ELi16ELi64ELi64EdEEvii21rocsparse_index_base_PKT3_PKiS6_iS1_PS2_S6_PiNS_24const_host_device_scalarIS2_EEb.num_named_barrier, 0
	.set _ZN9rocsparseL23csr2csr_compress_kernelILi1024ELi16ELi64ELi64EdEEvii21rocsparse_index_base_PKT3_PKiS6_iS1_PS2_S6_PiNS_24const_host_device_scalarIS2_EEb.private_seg_size, 0
	.set _ZN9rocsparseL23csr2csr_compress_kernelILi1024ELi16ELi64ELi64EdEEvii21rocsparse_index_base_PKT3_PKiS6_iS1_PS2_S6_PiNS_24const_host_device_scalarIS2_EEb.uses_vcc, 1
	.set _ZN9rocsparseL23csr2csr_compress_kernelILi1024ELi16ELi64ELi64EdEEvii21rocsparse_index_base_PKT3_PKiS6_iS1_PS2_S6_PiNS_24const_host_device_scalarIS2_EEb.uses_flat_scratch, 0
	.set _ZN9rocsparseL23csr2csr_compress_kernelILi1024ELi16ELi64ELi64EdEEvii21rocsparse_index_base_PKT3_PKiS6_iS1_PS2_S6_PiNS_24const_host_device_scalarIS2_EEb.has_dyn_sized_stack, 0
	.set _ZN9rocsparseL23csr2csr_compress_kernelILi1024ELi16ELi64ELi64EdEEvii21rocsparse_index_base_PKT3_PKiS6_iS1_PS2_S6_PiNS_24const_host_device_scalarIS2_EEb.has_recursion, 0
	.set _ZN9rocsparseL23csr2csr_compress_kernelILi1024ELi16ELi64ELi64EdEEvii21rocsparse_index_base_PKT3_PKiS6_iS1_PS2_S6_PiNS_24const_host_device_scalarIS2_EEb.has_indirect_call, 0
	.section	.AMDGPU.csdata,"",@progbits
; Kernel info:
; codeLenInByte = 588
; TotalNumSgprs: 22
; NumVgprs: 19
; ScratchSize: 0
; MemoryBound: 0
; FloatMode: 240
; IeeeMode: 1
; LDSByteSize: 0 bytes/workgroup (compile time only)
; SGPRBlocks: 2
; VGPRBlocks: 4
; NumSGPRsForWavesPerEU: 22
; NumVGPRsForWavesPerEU: 19
; Occupancy: 10
; WaveLimiterHint : 0
; COMPUTE_PGM_RSRC2:SCRATCH_EN: 0
; COMPUTE_PGM_RSRC2:USER_SGPR: 6
; COMPUTE_PGM_RSRC2:TRAP_HANDLER: 0
; COMPUTE_PGM_RSRC2:TGID_X_EN: 1
; COMPUTE_PGM_RSRC2:TGID_Y_EN: 0
; COMPUTE_PGM_RSRC2:TGID_Z_EN: 0
; COMPUTE_PGM_RSRC2:TIDIG_COMP_CNT: 0
	.section	.AMDGPU.gpr_maximums,"",@progbits
	.set amdgpu.max_num_vgpr, 0
	.set amdgpu.max_num_agpr, 0
	.set amdgpu.max_num_sgpr, 0
	.section	.AMDGPU.csdata,"",@progbits
	.type	__hip_cuid_eecf63f60b75eb8c,@object ; @__hip_cuid_eecf63f60b75eb8c
	.section	.bss,"aw",@nobits
	.globl	__hip_cuid_eecf63f60b75eb8c
__hip_cuid_eecf63f60b75eb8c:
	.byte	0                               ; 0x0
	.size	__hip_cuid_eecf63f60b75eb8c, 1

	.ident	"AMD clang version 22.0.0git (https://github.com/RadeonOpenCompute/llvm-project roc-7.2.4 26084 f58b06dce1f9c15707c5f808fd002e18c2accf7e)"
	.section	".note.GNU-stack","",@progbits
	.addrsig
	.addrsig_sym __hip_cuid_eecf63f60b75eb8c
	.amdgpu_metadata
---
amdhsa.kernels:
  - .args:
      - .offset:         0
        .size:           4
        .value_kind:     by_value
      - .address_space:  global
        .offset:         8
        .size:           8
        .value_kind:     global_buffer
      - .address_space:  global
        .offset:         16
        .size:           8
        .value_kind:     global_buffer
    .group_segment_fixed_size: 0
    .kernarg_segment_align: 8
    .kernarg_segment_size: 24
    .language:       OpenCL C
    .language_version:
      - 2
      - 0
    .max_flat_workgroup_size: 256
    .name:           _ZN9rocsparseL10abs_kernelILi256EfEEviPKT0_PS1_
    .private_segment_fixed_size: 0
    .sgpr_count:     11
    .sgpr_spill_count: 0
    .symbol:         _ZN9rocsparseL10abs_kernelILi256EfEEviPKT0_PS1_.kd
    .uniform_work_group_size: 1
    .uses_dynamic_stack: false
    .vgpr_count:     4
    .vgpr_spill_count: 0
    .wavefront_size: 64
  - .args:
      - .offset:         0
        .size:           4
        .value_kind:     by_value
      - .address_space:  global
        .offset:         8
        .size:           8
        .value_kind:     global_buffer
      - .address_space:  global
        .offset:         16
        .size:           8
        .value_kind:     global_buffer
    .group_segment_fixed_size: 0
    .kernarg_segment_align: 8
    .kernarg_segment_size: 24
    .language:       OpenCL C
    .language_version:
      - 2
      - 0
    .max_flat_workgroup_size: 256
    .name:           _ZN9rocsparseL10abs_kernelILi256EdEEviPKT0_PS1_
    .private_segment_fixed_size: 0
    .sgpr_count:     11
    .sgpr_spill_count: 0
    .symbol:         _ZN9rocsparseL10abs_kernelILi256EdEEviPKT0_PS1_.kd
    .uniform_work_group_size: 1
    .uses_dynamic_stack: false
    .vgpr_count:     6
    .vgpr_spill_count: 0
    .wavefront_size: 64
  - .args:
      - .offset:         0
        .size:           4
        .value_kind:     by_value
      - .offset:         4
        .size:           4
        .value_kind:     by_value
      - .offset:         8
        .size:           4
        .value_kind:     by_value
      - .actual_access:  read_only
        .address_space:  global
        .offset:         16
        .size:           8
        .value_kind:     global_buffer
      - .actual_access:  read_only
        .address_space:  global
        .offset:         24
        .size:           8
        .value_kind:     global_buffer
      - .actual_access:  read_only
        .address_space:  global
        .offset:         32
        .size:           8
        .value_kind:     global_buffer
      - .offset:         40
        .size:           4
        .value_kind:     by_value
      - .offset:         44
        .size:           4
        .value_kind:     by_value
      - .actual_access:  write_only
        .address_space:  global
        .offset:         48
        .size:           8
        .value_kind:     global_buffer
      - .actual_access:  read_only
        .address_space:  global
        .offset:         56
        .size:           8
        .value_kind:     global_buffer
      - .actual_access:  write_only
        .address_space:  global
        .offset:         64
        .size:           8
        .value_kind:     global_buffer
      - .offset:         72
        .size:           8
        .value_kind:     by_value
      - .offset:         80
        .size:           1
        .value_kind:     by_value
    .group_segment_fixed_size: 0
    .kernarg_segment_align: 8
    .kernarg_segment_size: 84
    .language:       OpenCL C
    .language_version:
      - 2
      - 0
    .max_flat_workgroup_size: 1024
    .name:           _ZN9rocsparseL23csr2csr_compress_kernelILi1024ELi512ELi2ELi32EfEEvii21rocsparse_index_base_PKT3_PKiS6_iS1_PS2_S6_PiNS_24const_host_device_scalarIS2_EEb
    .private_segment_fixed_size: 0
    .sgpr_count:     20
    .sgpr_spill_count: 0
    .symbol:         _ZN9rocsparseL23csr2csr_compress_kernelILi1024ELi512ELi2ELi32EfEEvii21rocsparse_index_base_PKT3_PKiS6_iS1_PS2_S6_PiNS_24const_host_device_scalarIS2_EEb.kd
    .uniform_work_group_size: 1
    .uses_dynamic_stack: false
    .vgpr_count:     15
    .vgpr_spill_count: 0
    .wavefront_size: 64
  - .args:
      - .offset:         0
        .size:           4
        .value_kind:     by_value
      - .offset:         4
        .size:           4
        .value_kind:     by_value
      - .offset:         8
        .size:           4
        .value_kind:     by_value
      - .actual_access:  read_only
        .address_space:  global
        .offset:         16
        .size:           8
        .value_kind:     global_buffer
      - .actual_access:  read_only
        .address_space:  global
        .offset:         24
        .size:           8
        .value_kind:     global_buffer
      - .actual_access:  read_only
        .address_space:  global
        .offset:         32
        .size:           8
        .value_kind:     global_buffer
      - .offset:         40
        .size:           4
        .value_kind:     by_value
      - .offset:         44
        .size:           4
        .value_kind:     by_value
      - .actual_access:  write_only
        .address_space:  global
        .offset:         48
        .size:           8
        .value_kind:     global_buffer
      - .actual_access:  read_only
        .address_space:  global
        .offset:         56
        .size:           8
        .value_kind:     global_buffer
      - .actual_access:  write_only
        .address_space:  global
        .offset:         64
        .size:           8
        .value_kind:     global_buffer
      - .offset:         72
        .size:           8
        .value_kind:     by_value
      - .offset:         80
        .size:           1
        .value_kind:     by_value
    .group_segment_fixed_size: 0
    .kernarg_segment_align: 8
    .kernarg_segment_size: 84
    .language:       OpenCL C
    .language_version:
      - 2
      - 0
    .max_flat_workgroup_size: 1024
    .name:           _ZN9rocsparseL23csr2csr_compress_kernelILi1024ELi256ELi4ELi32EfEEvii21rocsparse_index_base_PKT3_PKiS6_iS1_PS2_S6_PiNS_24const_host_device_scalarIS2_EEb
    .private_segment_fixed_size: 0
    .sgpr_count:     20
    .sgpr_spill_count: 0
    .symbol:         _ZN9rocsparseL23csr2csr_compress_kernelILi1024ELi256ELi4ELi32EfEEvii21rocsparse_index_base_PKT3_PKiS6_iS1_PS2_S6_PiNS_24const_host_device_scalarIS2_EEb.kd
    .uniform_work_group_size: 1
    .uses_dynamic_stack: false
    .vgpr_count:     15
    .vgpr_spill_count: 0
    .wavefront_size: 64
  - .args:
      - .offset:         0
        .size:           4
        .value_kind:     by_value
      - .offset:         4
        .size:           4
        .value_kind:     by_value
      - .offset:         8
        .size:           4
        .value_kind:     by_value
      - .actual_access:  read_only
        .address_space:  global
        .offset:         16
        .size:           8
        .value_kind:     global_buffer
      - .actual_access:  read_only
        .address_space:  global
        .offset:         24
        .size:           8
        .value_kind:     global_buffer
      - .actual_access:  read_only
        .address_space:  global
        .offset:         32
        .size:           8
        .value_kind:     global_buffer
      - .offset:         40
        .size:           4
        .value_kind:     by_value
      - .offset:         44
        .size:           4
        .value_kind:     by_value
      - .actual_access:  write_only
        .address_space:  global
        .offset:         48
        .size:           8
        .value_kind:     global_buffer
      - .actual_access:  read_only
        .address_space:  global
        .offset:         56
        .size:           8
        .value_kind:     global_buffer
      - .actual_access:  write_only
        .address_space:  global
        .offset:         64
        .size:           8
        .value_kind:     global_buffer
      - .offset:         72
        .size:           8
        .value_kind:     by_value
      - .offset:         80
        .size:           1
        .value_kind:     by_value
    .group_segment_fixed_size: 0
    .kernarg_segment_align: 8
    .kernarg_segment_size: 84
    .language:       OpenCL C
    .language_version:
      - 2
      - 0
    .max_flat_workgroup_size: 1024
    .name:           _ZN9rocsparseL23csr2csr_compress_kernelILi1024ELi128ELi8ELi32EfEEvii21rocsparse_index_base_PKT3_PKiS6_iS1_PS2_S6_PiNS_24const_host_device_scalarIS2_EEb
    .private_segment_fixed_size: 0
    .sgpr_count:     20
    .sgpr_spill_count: 0
    .symbol:         _ZN9rocsparseL23csr2csr_compress_kernelILi1024ELi128ELi8ELi32EfEEvii21rocsparse_index_base_PKT3_PKiS6_iS1_PS2_S6_PiNS_24const_host_device_scalarIS2_EEb.kd
    .uniform_work_group_size: 1
    .uses_dynamic_stack: false
    .vgpr_count:     15
    .vgpr_spill_count: 0
    .wavefront_size: 64
  - .args:
      - .offset:         0
        .size:           4
        .value_kind:     by_value
      - .offset:         4
        .size:           4
        .value_kind:     by_value
      - .offset:         8
        .size:           4
        .value_kind:     by_value
      - .actual_access:  read_only
        .address_space:  global
        .offset:         16
        .size:           8
        .value_kind:     global_buffer
      - .actual_access:  read_only
        .address_space:  global
        .offset:         24
        .size:           8
        .value_kind:     global_buffer
      - .actual_access:  read_only
        .address_space:  global
        .offset:         32
        .size:           8
        .value_kind:     global_buffer
      - .offset:         40
        .size:           4
        .value_kind:     by_value
      - .offset:         44
        .size:           4
        .value_kind:     by_value
      - .actual_access:  write_only
        .address_space:  global
        .offset:         48
        .size:           8
        .value_kind:     global_buffer
      - .actual_access:  read_only
        .address_space:  global
        .offset:         56
        .size:           8
        .value_kind:     global_buffer
      - .actual_access:  write_only
        .address_space:  global
        .offset:         64
        .size:           8
        .value_kind:     global_buffer
      - .offset:         72
        .size:           8
        .value_kind:     by_value
      - .offset:         80
        .size:           1
        .value_kind:     by_value
    .group_segment_fixed_size: 0
    .kernarg_segment_align: 8
    .kernarg_segment_size: 84
    .language:       OpenCL C
    .language_version:
      - 2
      - 0
    .max_flat_workgroup_size: 1024
    .name:           _ZN9rocsparseL23csr2csr_compress_kernelILi1024ELi64ELi16ELi32EfEEvii21rocsparse_index_base_PKT3_PKiS6_iS1_PS2_S6_PiNS_24const_host_device_scalarIS2_EEb
    .private_segment_fixed_size: 0
    .sgpr_count:     20
    .sgpr_spill_count: 0
    .symbol:         _ZN9rocsparseL23csr2csr_compress_kernelILi1024ELi64ELi16ELi32EfEEvii21rocsparse_index_base_PKT3_PKiS6_iS1_PS2_S6_PiNS_24const_host_device_scalarIS2_EEb.kd
    .uniform_work_group_size: 1
    .uses_dynamic_stack: false
    .vgpr_count:     15
    .vgpr_spill_count: 0
    .wavefront_size: 64
  - .args:
      - .offset:         0
        .size:           4
        .value_kind:     by_value
      - .offset:         4
        .size:           4
        .value_kind:     by_value
      - .offset:         8
        .size:           4
        .value_kind:     by_value
      - .actual_access:  read_only
        .address_space:  global
        .offset:         16
        .size:           8
        .value_kind:     global_buffer
      - .actual_access:  read_only
        .address_space:  global
        .offset:         24
        .size:           8
        .value_kind:     global_buffer
      - .actual_access:  read_only
        .address_space:  global
        .offset:         32
        .size:           8
        .value_kind:     global_buffer
      - .offset:         40
        .size:           4
        .value_kind:     by_value
      - .offset:         44
        .size:           4
        .value_kind:     by_value
      - .actual_access:  write_only
        .address_space:  global
        .offset:         48
        .size:           8
        .value_kind:     global_buffer
      - .actual_access:  read_only
        .address_space:  global
        .offset:         56
        .size:           8
        .value_kind:     global_buffer
      - .actual_access:  write_only
        .address_space:  global
        .offset:         64
        .size:           8
        .value_kind:     global_buffer
      - .offset:         72
        .size:           8
        .value_kind:     by_value
      - .offset:         80
        .size:           1
        .value_kind:     by_value
    .group_segment_fixed_size: 0
    .kernarg_segment_align: 8
    .kernarg_segment_size: 84
    .language:       OpenCL C
    .language_version:
      - 2
      - 0
    .max_flat_workgroup_size: 1024
    .name:           _ZN9rocsparseL23csr2csr_compress_kernelILi1024ELi32ELi32ELi32EfEEvii21rocsparse_index_base_PKT3_PKiS6_iS1_PS2_S6_PiNS_24const_host_device_scalarIS2_EEb
    .private_segment_fixed_size: 0
    .sgpr_count:     20
    .sgpr_spill_count: 0
    .symbol:         _ZN9rocsparseL23csr2csr_compress_kernelILi1024ELi32ELi32ELi32EfEEvii21rocsparse_index_base_PKT3_PKiS6_iS1_PS2_S6_PiNS_24const_host_device_scalarIS2_EEb.kd
    .uniform_work_group_size: 1
    .uses_dynamic_stack: false
    .vgpr_count:     14
    .vgpr_spill_count: 0
    .wavefront_size: 64
  - .args:
      - .offset:         0
        .size:           4
        .value_kind:     by_value
      - .offset:         4
        .size:           4
        .value_kind:     by_value
      - .offset:         8
        .size:           4
        .value_kind:     by_value
      - .actual_access:  read_only
        .address_space:  global
        .offset:         16
        .size:           8
        .value_kind:     global_buffer
      - .actual_access:  read_only
        .address_space:  global
        .offset:         24
        .size:           8
        .value_kind:     global_buffer
      - .actual_access:  read_only
        .address_space:  global
        .offset:         32
        .size:           8
        .value_kind:     global_buffer
      - .offset:         40
        .size:           4
        .value_kind:     by_value
      - .offset:         44
        .size:           4
        .value_kind:     by_value
      - .actual_access:  write_only
        .address_space:  global
        .offset:         48
        .size:           8
        .value_kind:     global_buffer
      - .actual_access:  read_only
        .address_space:  global
        .offset:         56
        .size:           8
        .value_kind:     global_buffer
      - .actual_access:  write_only
        .address_space:  global
        .offset:         64
        .size:           8
        .value_kind:     global_buffer
      - .offset:         72
        .size:           8
        .value_kind:     by_value
      - .offset:         80
        .size:           1
        .value_kind:     by_value
    .group_segment_fixed_size: 0
    .kernarg_segment_align: 8
    .kernarg_segment_size: 84
    .language:       OpenCL C
    .language_version:
      - 2
      - 0
    .max_flat_workgroup_size: 1024
    .name:           _ZN9rocsparseL23csr2csr_compress_kernelILi1024ELi512ELi2ELi64EfEEvii21rocsparse_index_base_PKT3_PKiS6_iS1_PS2_S6_PiNS_24const_host_device_scalarIS2_EEb
    .private_segment_fixed_size: 0
    .sgpr_count:     20
    .sgpr_spill_count: 0
    .symbol:         _ZN9rocsparseL23csr2csr_compress_kernelILi1024ELi512ELi2ELi64EfEEvii21rocsparse_index_base_PKT3_PKiS6_iS1_PS2_S6_PiNS_24const_host_device_scalarIS2_EEb.kd
    .uniform_work_group_size: 1
    .uses_dynamic_stack: false
    .vgpr_count:     15
    .vgpr_spill_count: 0
    .wavefront_size: 64
  - .args:
      - .offset:         0
        .size:           4
        .value_kind:     by_value
      - .offset:         4
        .size:           4
        .value_kind:     by_value
      - .offset:         8
        .size:           4
        .value_kind:     by_value
      - .actual_access:  read_only
        .address_space:  global
        .offset:         16
        .size:           8
        .value_kind:     global_buffer
      - .actual_access:  read_only
        .address_space:  global
        .offset:         24
        .size:           8
        .value_kind:     global_buffer
      - .actual_access:  read_only
        .address_space:  global
        .offset:         32
        .size:           8
        .value_kind:     global_buffer
      - .offset:         40
        .size:           4
        .value_kind:     by_value
      - .offset:         44
        .size:           4
        .value_kind:     by_value
      - .actual_access:  write_only
        .address_space:  global
        .offset:         48
        .size:           8
        .value_kind:     global_buffer
      - .actual_access:  read_only
        .address_space:  global
        .offset:         56
        .size:           8
        .value_kind:     global_buffer
      - .actual_access:  write_only
        .address_space:  global
        .offset:         64
        .size:           8
        .value_kind:     global_buffer
      - .offset:         72
        .size:           8
        .value_kind:     by_value
      - .offset:         80
        .size:           1
        .value_kind:     by_value
    .group_segment_fixed_size: 0
    .kernarg_segment_align: 8
    .kernarg_segment_size: 84
    .language:       OpenCL C
    .language_version:
      - 2
      - 0
    .max_flat_workgroup_size: 1024
    .name:           _ZN9rocsparseL23csr2csr_compress_kernelILi1024ELi256ELi4ELi64EfEEvii21rocsparse_index_base_PKT3_PKiS6_iS1_PS2_S6_PiNS_24const_host_device_scalarIS2_EEb
    .private_segment_fixed_size: 0
    .sgpr_count:     20
    .sgpr_spill_count: 0
    .symbol:         _ZN9rocsparseL23csr2csr_compress_kernelILi1024ELi256ELi4ELi64EfEEvii21rocsparse_index_base_PKT3_PKiS6_iS1_PS2_S6_PiNS_24const_host_device_scalarIS2_EEb.kd
    .uniform_work_group_size: 1
    .uses_dynamic_stack: false
    .vgpr_count:     15
    .vgpr_spill_count: 0
    .wavefront_size: 64
  - .args:
      - .offset:         0
        .size:           4
        .value_kind:     by_value
      - .offset:         4
        .size:           4
        .value_kind:     by_value
      - .offset:         8
        .size:           4
        .value_kind:     by_value
      - .actual_access:  read_only
        .address_space:  global
        .offset:         16
        .size:           8
        .value_kind:     global_buffer
      - .actual_access:  read_only
        .address_space:  global
        .offset:         24
        .size:           8
        .value_kind:     global_buffer
      - .actual_access:  read_only
        .address_space:  global
        .offset:         32
        .size:           8
        .value_kind:     global_buffer
      - .offset:         40
        .size:           4
        .value_kind:     by_value
      - .offset:         44
        .size:           4
        .value_kind:     by_value
      - .actual_access:  write_only
        .address_space:  global
        .offset:         48
        .size:           8
        .value_kind:     global_buffer
      - .actual_access:  read_only
        .address_space:  global
        .offset:         56
        .size:           8
        .value_kind:     global_buffer
      - .actual_access:  write_only
        .address_space:  global
        .offset:         64
        .size:           8
        .value_kind:     global_buffer
      - .offset:         72
        .size:           8
        .value_kind:     by_value
      - .offset:         80
        .size:           1
        .value_kind:     by_value
    .group_segment_fixed_size: 0
    .kernarg_segment_align: 8
    .kernarg_segment_size: 84
    .language:       OpenCL C
    .language_version:
      - 2
      - 0
    .max_flat_workgroup_size: 1024
    .name:           _ZN9rocsparseL23csr2csr_compress_kernelILi1024ELi128ELi8ELi64EfEEvii21rocsparse_index_base_PKT3_PKiS6_iS1_PS2_S6_PiNS_24const_host_device_scalarIS2_EEb
    .private_segment_fixed_size: 0
    .sgpr_count:     20
    .sgpr_spill_count: 0
    .symbol:         _ZN9rocsparseL23csr2csr_compress_kernelILi1024ELi128ELi8ELi64EfEEvii21rocsparse_index_base_PKT3_PKiS6_iS1_PS2_S6_PiNS_24const_host_device_scalarIS2_EEb.kd
    .uniform_work_group_size: 1
    .uses_dynamic_stack: false
    .vgpr_count:     15
    .vgpr_spill_count: 0
    .wavefront_size: 64
  - .args:
      - .offset:         0
        .size:           4
        .value_kind:     by_value
      - .offset:         4
        .size:           4
        .value_kind:     by_value
      - .offset:         8
        .size:           4
        .value_kind:     by_value
      - .actual_access:  read_only
        .address_space:  global
        .offset:         16
        .size:           8
        .value_kind:     global_buffer
      - .actual_access:  read_only
        .address_space:  global
        .offset:         24
        .size:           8
        .value_kind:     global_buffer
      - .actual_access:  read_only
        .address_space:  global
        .offset:         32
        .size:           8
        .value_kind:     global_buffer
      - .offset:         40
        .size:           4
        .value_kind:     by_value
      - .offset:         44
        .size:           4
        .value_kind:     by_value
      - .actual_access:  write_only
        .address_space:  global
        .offset:         48
        .size:           8
        .value_kind:     global_buffer
      - .actual_access:  read_only
        .address_space:  global
        .offset:         56
        .size:           8
        .value_kind:     global_buffer
      - .actual_access:  write_only
        .address_space:  global
        .offset:         64
        .size:           8
        .value_kind:     global_buffer
      - .offset:         72
        .size:           8
        .value_kind:     by_value
      - .offset:         80
        .size:           1
        .value_kind:     by_value
    .group_segment_fixed_size: 0
    .kernarg_segment_align: 8
    .kernarg_segment_size: 84
    .language:       OpenCL C
    .language_version:
      - 2
      - 0
    .max_flat_workgroup_size: 1024
    .name:           _ZN9rocsparseL23csr2csr_compress_kernelILi1024ELi64ELi16ELi64EfEEvii21rocsparse_index_base_PKT3_PKiS6_iS1_PS2_S6_PiNS_24const_host_device_scalarIS2_EEb
    .private_segment_fixed_size: 0
    .sgpr_count:     20
    .sgpr_spill_count: 0
    .symbol:         _ZN9rocsparseL23csr2csr_compress_kernelILi1024ELi64ELi16ELi64EfEEvii21rocsparse_index_base_PKT3_PKiS6_iS1_PS2_S6_PiNS_24const_host_device_scalarIS2_EEb.kd
    .uniform_work_group_size: 1
    .uses_dynamic_stack: false
    .vgpr_count:     15
    .vgpr_spill_count: 0
    .wavefront_size: 64
  - .args:
      - .offset:         0
        .size:           4
        .value_kind:     by_value
      - .offset:         4
        .size:           4
        .value_kind:     by_value
      - .offset:         8
        .size:           4
        .value_kind:     by_value
      - .actual_access:  read_only
        .address_space:  global
        .offset:         16
        .size:           8
        .value_kind:     global_buffer
      - .actual_access:  read_only
        .address_space:  global
        .offset:         24
        .size:           8
        .value_kind:     global_buffer
      - .actual_access:  read_only
        .address_space:  global
        .offset:         32
        .size:           8
        .value_kind:     global_buffer
      - .offset:         40
        .size:           4
        .value_kind:     by_value
      - .offset:         44
        .size:           4
        .value_kind:     by_value
      - .actual_access:  write_only
        .address_space:  global
        .offset:         48
        .size:           8
        .value_kind:     global_buffer
      - .actual_access:  read_only
        .address_space:  global
        .offset:         56
        .size:           8
        .value_kind:     global_buffer
      - .actual_access:  write_only
        .address_space:  global
        .offset:         64
        .size:           8
        .value_kind:     global_buffer
      - .offset:         72
        .size:           8
        .value_kind:     by_value
      - .offset:         80
        .size:           1
        .value_kind:     by_value
    .group_segment_fixed_size: 0
    .kernarg_segment_align: 8
    .kernarg_segment_size: 84
    .language:       OpenCL C
    .language_version:
      - 2
      - 0
    .max_flat_workgroup_size: 1024
    .name:           _ZN9rocsparseL23csr2csr_compress_kernelILi1024ELi32ELi32ELi64EfEEvii21rocsparse_index_base_PKT3_PKiS6_iS1_PS2_S6_PiNS_24const_host_device_scalarIS2_EEb
    .private_segment_fixed_size: 0
    .sgpr_count:     20
    .sgpr_spill_count: 0
    .symbol:         _ZN9rocsparseL23csr2csr_compress_kernelILi1024ELi32ELi32ELi64EfEEvii21rocsparse_index_base_PKT3_PKiS6_iS1_PS2_S6_PiNS_24const_host_device_scalarIS2_EEb.kd
    .uniform_work_group_size: 1
    .uses_dynamic_stack: false
    .vgpr_count:     15
    .vgpr_spill_count: 0
    .wavefront_size: 64
  - .args:
      - .offset:         0
        .size:           4
        .value_kind:     by_value
      - .offset:         4
        .size:           4
        .value_kind:     by_value
      - .offset:         8
        .size:           4
        .value_kind:     by_value
      - .actual_access:  read_only
        .address_space:  global
        .offset:         16
        .size:           8
        .value_kind:     global_buffer
      - .actual_access:  read_only
        .address_space:  global
        .offset:         24
        .size:           8
        .value_kind:     global_buffer
      - .actual_access:  read_only
        .address_space:  global
        .offset:         32
        .size:           8
        .value_kind:     global_buffer
      - .offset:         40
        .size:           4
        .value_kind:     by_value
      - .offset:         44
        .size:           4
        .value_kind:     by_value
      - .actual_access:  write_only
        .address_space:  global
        .offset:         48
        .size:           8
        .value_kind:     global_buffer
      - .actual_access:  read_only
        .address_space:  global
        .offset:         56
        .size:           8
        .value_kind:     global_buffer
      - .actual_access:  write_only
        .address_space:  global
        .offset:         64
        .size:           8
        .value_kind:     global_buffer
      - .offset:         72
        .size:           8
        .value_kind:     by_value
      - .offset:         80
        .size:           1
        .value_kind:     by_value
    .group_segment_fixed_size: 0
    .kernarg_segment_align: 8
    .kernarg_segment_size: 84
    .language:       OpenCL C
    .language_version:
      - 2
      - 0
    .max_flat_workgroup_size: 1024
    .name:           _ZN9rocsparseL23csr2csr_compress_kernelILi1024ELi16ELi64ELi64EfEEvii21rocsparse_index_base_PKT3_PKiS6_iS1_PS2_S6_PiNS_24const_host_device_scalarIS2_EEb
    .private_segment_fixed_size: 0
    .sgpr_count:     20
    .sgpr_spill_count: 0
    .symbol:         _ZN9rocsparseL23csr2csr_compress_kernelILi1024ELi16ELi64ELi64EfEEvii21rocsparse_index_base_PKT3_PKiS6_iS1_PS2_S6_PiNS_24const_host_device_scalarIS2_EEb.kd
    .uniform_work_group_size: 1
    .uses_dynamic_stack: false
    .vgpr_count:     15
    .vgpr_spill_count: 0
    .wavefront_size: 64
  - .args:
      - .offset:         0
        .size:           4
        .value_kind:     by_value
      - .offset:         4
        .size:           4
        .value_kind:     by_value
      - .offset:         8
        .size:           4
        .value_kind:     by_value
      - .actual_access:  read_only
        .address_space:  global
        .offset:         16
        .size:           8
        .value_kind:     global_buffer
      - .actual_access:  read_only
        .address_space:  global
        .offset:         24
        .size:           8
        .value_kind:     global_buffer
      - .actual_access:  read_only
        .address_space:  global
        .offset:         32
        .size:           8
        .value_kind:     global_buffer
      - .offset:         40
        .size:           4
        .value_kind:     by_value
      - .offset:         44
        .size:           4
        .value_kind:     by_value
      - .actual_access:  write_only
        .address_space:  global
        .offset:         48
        .size:           8
        .value_kind:     global_buffer
      - .actual_access:  read_only
        .address_space:  global
        .offset:         56
        .size:           8
        .value_kind:     global_buffer
      - .actual_access:  write_only
        .address_space:  global
        .offset:         64
        .size:           8
        .value_kind:     global_buffer
      - .offset:         72
        .size:           8
        .value_kind:     by_value
      - .offset:         80
        .size:           1
        .value_kind:     by_value
    .group_segment_fixed_size: 0
    .kernarg_segment_align: 8
    .kernarg_segment_size: 84
    .language:       OpenCL C
    .language_version:
      - 2
      - 0
    .max_flat_workgroup_size: 1024
    .name:           _ZN9rocsparseL23csr2csr_compress_kernelILi1024ELi512ELi2ELi32EdEEvii21rocsparse_index_base_PKT3_PKiS6_iS1_PS2_S6_PiNS_24const_host_device_scalarIS2_EEb
    .private_segment_fixed_size: 0
    .sgpr_count:     22
    .sgpr_spill_count: 0
    .symbol:         _ZN9rocsparseL23csr2csr_compress_kernelILi1024ELi512ELi2ELi32EdEEvii21rocsparse_index_base_PKT3_PKiS6_iS1_PS2_S6_PiNS_24const_host_device_scalarIS2_EEb.kd
    .uniform_work_group_size: 1
    .uses_dynamic_stack: false
    .vgpr_count:     19
    .vgpr_spill_count: 0
    .wavefront_size: 64
  - .args:
      - .offset:         0
        .size:           4
        .value_kind:     by_value
      - .offset:         4
        .size:           4
        .value_kind:     by_value
      - .offset:         8
        .size:           4
        .value_kind:     by_value
      - .actual_access:  read_only
        .address_space:  global
        .offset:         16
        .size:           8
        .value_kind:     global_buffer
      - .actual_access:  read_only
        .address_space:  global
        .offset:         24
        .size:           8
        .value_kind:     global_buffer
      - .actual_access:  read_only
        .address_space:  global
        .offset:         32
        .size:           8
        .value_kind:     global_buffer
      - .offset:         40
        .size:           4
        .value_kind:     by_value
      - .offset:         44
        .size:           4
        .value_kind:     by_value
      - .actual_access:  write_only
        .address_space:  global
        .offset:         48
        .size:           8
        .value_kind:     global_buffer
      - .actual_access:  read_only
        .address_space:  global
        .offset:         56
        .size:           8
        .value_kind:     global_buffer
      - .actual_access:  write_only
        .address_space:  global
        .offset:         64
        .size:           8
        .value_kind:     global_buffer
      - .offset:         72
        .size:           8
        .value_kind:     by_value
      - .offset:         80
        .size:           1
        .value_kind:     by_value
    .group_segment_fixed_size: 0
    .kernarg_segment_align: 8
    .kernarg_segment_size: 84
    .language:       OpenCL C
    .language_version:
      - 2
      - 0
    .max_flat_workgroup_size: 1024
    .name:           _ZN9rocsparseL23csr2csr_compress_kernelILi1024ELi256ELi4ELi32EdEEvii21rocsparse_index_base_PKT3_PKiS6_iS1_PS2_S6_PiNS_24const_host_device_scalarIS2_EEb
    .private_segment_fixed_size: 0
    .sgpr_count:     22
    .sgpr_spill_count: 0
    .symbol:         _ZN9rocsparseL23csr2csr_compress_kernelILi1024ELi256ELi4ELi32EdEEvii21rocsparse_index_base_PKT3_PKiS6_iS1_PS2_S6_PiNS_24const_host_device_scalarIS2_EEb.kd
    .uniform_work_group_size: 1
    .uses_dynamic_stack: false
    .vgpr_count:     19
    .vgpr_spill_count: 0
    .wavefront_size: 64
  - .args:
      - .offset:         0
        .size:           4
        .value_kind:     by_value
      - .offset:         4
        .size:           4
        .value_kind:     by_value
      - .offset:         8
        .size:           4
        .value_kind:     by_value
      - .actual_access:  read_only
        .address_space:  global
        .offset:         16
        .size:           8
        .value_kind:     global_buffer
      - .actual_access:  read_only
        .address_space:  global
        .offset:         24
        .size:           8
        .value_kind:     global_buffer
      - .actual_access:  read_only
        .address_space:  global
        .offset:         32
        .size:           8
        .value_kind:     global_buffer
      - .offset:         40
        .size:           4
        .value_kind:     by_value
      - .offset:         44
        .size:           4
        .value_kind:     by_value
      - .actual_access:  write_only
        .address_space:  global
        .offset:         48
        .size:           8
        .value_kind:     global_buffer
      - .actual_access:  read_only
        .address_space:  global
        .offset:         56
        .size:           8
        .value_kind:     global_buffer
      - .actual_access:  write_only
        .address_space:  global
        .offset:         64
        .size:           8
        .value_kind:     global_buffer
      - .offset:         72
        .size:           8
        .value_kind:     by_value
      - .offset:         80
        .size:           1
        .value_kind:     by_value
    .group_segment_fixed_size: 0
    .kernarg_segment_align: 8
    .kernarg_segment_size: 84
    .language:       OpenCL C
    .language_version:
      - 2
      - 0
    .max_flat_workgroup_size: 1024
    .name:           _ZN9rocsparseL23csr2csr_compress_kernelILi1024ELi128ELi8ELi32EdEEvii21rocsparse_index_base_PKT3_PKiS6_iS1_PS2_S6_PiNS_24const_host_device_scalarIS2_EEb
    .private_segment_fixed_size: 0
    .sgpr_count:     22
    .sgpr_spill_count: 0
    .symbol:         _ZN9rocsparseL23csr2csr_compress_kernelILi1024ELi128ELi8ELi32EdEEvii21rocsparse_index_base_PKT3_PKiS6_iS1_PS2_S6_PiNS_24const_host_device_scalarIS2_EEb.kd
    .uniform_work_group_size: 1
    .uses_dynamic_stack: false
    .vgpr_count:     19
    .vgpr_spill_count: 0
    .wavefront_size: 64
  - .args:
      - .offset:         0
        .size:           4
        .value_kind:     by_value
      - .offset:         4
        .size:           4
        .value_kind:     by_value
      - .offset:         8
        .size:           4
        .value_kind:     by_value
      - .actual_access:  read_only
        .address_space:  global
        .offset:         16
        .size:           8
        .value_kind:     global_buffer
      - .actual_access:  read_only
        .address_space:  global
        .offset:         24
        .size:           8
        .value_kind:     global_buffer
      - .actual_access:  read_only
        .address_space:  global
        .offset:         32
        .size:           8
        .value_kind:     global_buffer
      - .offset:         40
        .size:           4
        .value_kind:     by_value
      - .offset:         44
        .size:           4
        .value_kind:     by_value
      - .actual_access:  write_only
        .address_space:  global
        .offset:         48
        .size:           8
        .value_kind:     global_buffer
      - .actual_access:  read_only
        .address_space:  global
        .offset:         56
        .size:           8
        .value_kind:     global_buffer
      - .actual_access:  write_only
        .address_space:  global
        .offset:         64
        .size:           8
        .value_kind:     global_buffer
      - .offset:         72
        .size:           8
        .value_kind:     by_value
      - .offset:         80
        .size:           1
        .value_kind:     by_value
    .group_segment_fixed_size: 0
    .kernarg_segment_align: 8
    .kernarg_segment_size: 84
    .language:       OpenCL C
    .language_version:
      - 2
      - 0
    .max_flat_workgroup_size: 1024
    .name:           _ZN9rocsparseL23csr2csr_compress_kernelILi1024ELi64ELi16ELi32EdEEvii21rocsparse_index_base_PKT3_PKiS6_iS1_PS2_S6_PiNS_24const_host_device_scalarIS2_EEb
    .private_segment_fixed_size: 0
    .sgpr_count:     22
    .sgpr_spill_count: 0
    .symbol:         _ZN9rocsparseL23csr2csr_compress_kernelILi1024ELi64ELi16ELi32EdEEvii21rocsparse_index_base_PKT3_PKiS6_iS1_PS2_S6_PiNS_24const_host_device_scalarIS2_EEb.kd
    .uniform_work_group_size: 1
    .uses_dynamic_stack: false
    .vgpr_count:     19
    .vgpr_spill_count: 0
    .wavefront_size: 64
  - .args:
      - .offset:         0
        .size:           4
        .value_kind:     by_value
      - .offset:         4
        .size:           4
        .value_kind:     by_value
      - .offset:         8
        .size:           4
        .value_kind:     by_value
      - .actual_access:  read_only
        .address_space:  global
        .offset:         16
        .size:           8
        .value_kind:     global_buffer
      - .actual_access:  read_only
        .address_space:  global
        .offset:         24
        .size:           8
        .value_kind:     global_buffer
      - .actual_access:  read_only
        .address_space:  global
        .offset:         32
        .size:           8
        .value_kind:     global_buffer
      - .offset:         40
        .size:           4
        .value_kind:     by_value
      - .offset:         44
        .size:           4
        .value_kind:     by_value
      - .actual_access:  write_only
        .address_space:  global
        .offset:         48
        .size:           8
        .value_kind:     global_buffer
      - .actual_access:  read_only
        .address_space:  global
        .offset:         56
        .size:           8
        .value_kind:     global_buffer
      - .actual_access:  write_only
        .address_space:  global
        .offset:         64
        .size:           8
        .value_kind:     global_buffer
      - .offset:         72
        .size:           8
        .value_kind:     by_value
      - .offset:         80
        .size:           1
        .value_kind:     by_value
    .group_segment_fixed_size: 0
    .kernarg_segment_align: 8
    .kernarg_segment_size: 84
    .language:       OpenCL C
    .language_version:
      - 2
      - 0
    .max_flat_workgroup_size: 1024
    .name:           _ZN9rocsparseL23csr2csr_compress_kernelILi1024ELi32ELi32ELi32EdEEvii21rocsparse_index_base_PKT3_PKiS6_iS1_PS2_S6_PiNS_24const_host_device_scalarIS2_EEb
    .private_segment_fixed_size: 0
    .sgpr_count:     22
    .sgpr_spill_count: 0
    .symbol:         _ZN9rocsparseL23csr2csr_compress_kernelILi1024ELi32ELi32ELi32EdEEvii21rocsparse_index_base_PKT3_PKiS6_iS1_PS2_S6_PiNS_24const_host_device_scalarIS2_EEb.kd
    .uniform_work_group_size: 1
    .uses_dynamic_stack: false
    .vgpr_count:     18
    .vgpr_spill_count: 0
    .wavefront_size: 64
  - .args:
      - .offset:         0
        .size:           4
        .value_kind:     by_value
      - .offset:         4
        .size:           4
        .value_kind:     by_value
      - .offset:         8
        .size:           4
        .value_kind:     by_value
      - .actual_access:  read_only
        .address_space:  global
        .offset:         16
        .size:           8
        .value_kind:     global_buffer
      - .actual_access:  read_only
        .address_space:  global
        .offset:         24
        .size:           8
        .value_kind:     global_buffer
      - .actual_access:  read_only
        .address_space:  global
        .offset:         32
        .size:           8
        .value_kind:     global_buffer
      - .offset:         40
        .size:           4
        .value_kind:     by_value
      - .offset:         44
        .size:           4
        .value_kind:     by_value
      - .actual_access:  write_only
        .address_space:  global
        .offset:         48
        .size:           8
        .value_kind:     global_buffer
      - .actual_access:  read_only
        .address_space:  global
        .offset:         56
        .size:           8
        .value_kind:     global_buffer
      - .actual_access:  write_only
        .address_space:  global
        .offset:         64
        .size:           8
        .value_kind:     global_buffer
      - .offset:         72
        .size:           8
        .value_kind:     by_value
      - .offset:         80
        .size:           1
        .value_kind:     by_value
    .group_segment_fixed_size: 0
    .kernarg_segment_align: 8
    .kernarg_segment_size: 84
    .language:       OpenCL C
    .language_version:
      - 2
      - 0
    .max_flat_workgroup_size: 1024
    .name:           _ZN9rocsparseL23csr2csr_compress_kernelILi1024ELi512ELi2ELi64EdEEvii21rocsparse_index_base_PKT3_PKiS6_iS1_PS2_S6_PiNS_24const_host_device_scalarIS2_EEb
    .private_segment_fixed_size: 0
    .sgpr_count:     22
    .sgpr_spill_count: 0
    .symbol:         _ZN9rocsparseL23csr2csr_compress_kernelILi1024ELi512ELi2ELi64EdEEvii21rocsparse_index_base_PKT3_PKiS6_iS1_PS2_S6_PiNS_24const_host_device_scalarIS2_EEb.kd
    .uniform_work_group_size: 1
    .uses_dynamic_stack: false
    .vgpr_count:     19
    .vgpr_spill_count: 0
    .wavefront_size: 64
  - .args:
      - .offset:         0
        .size:           4
        .value_kind:     by_value
      - .offset:         4
        .size:           4
        .value_kind:     by_value
      - .offset:         8
        .size:           4
        .value_kind:     by_value
      - .actual_access:  read_only
        .address_space:  global
        .offset:         16
        .size:           8
        .value_kind:     global_buffer
      - .actual_access:  read_only
        .address_space:  global
        .offset:         24
        .size:           8
        .value_kind:     global_buffer
      - .actual_access:  read_only
        .address_space:  global
        .offset:         32
        .size:           8
        .value_kind:     global_buffer
      - .offset:         40
        .size:           4
        .value_kind:     by_value
      - .offset:         44
        .size:           4
        .value_kind:     by_value
      - .actual_access:  write_only
        .address_space:  global
        .offset:         48
        .size:           8
        .value_kind:     global_buffer
      - .actual_access:  read_only
        .address_space:  global
        .offset:         56
        .size:           8
        .value_kind:     global_buffer
      - .actual_access:  write_only
        .address_space:  global
        .offset:         64
        .size:           8
        .value_kind:     global_buffer
      - .offset:         72
        .size:           8
        .value_kind:     by_value
      - .offset:         80
        .size:           1
        .value_kind:     by_value
    .group_segment_fixed_size: 0
    .kernarg_segment_align: 8
    .kernarg_segment_size: 84
    .language:       OpenCL C
    .language_version:
      - 2
      - 0
    .max_flat_workgroup_size: 1024
    .name:           _ZN9rocsparseL23csr2csr_compress_kernelILi1024ELi256ELi4ELi64EdEEvii21rocsparse_index_base_PKT3_PKiS6_iS1_PS2_S6_PiNS_24const_host_device_scalarIS2_EEb
    .private_segment_fixed_size: 0
    .sgpr_count:     22
    .sgpr_spill_count: 0
    .symbol:         _ZN9rocsparseL23csr2csr_compress_kernelILi1024ELi256ELi4ELi64EdEEvii21rocsparse_index_base_PKT3_PKiS6_iS1_PS2_S6_PiNS_24const_host_device_scalarIS2_EEb.kd
    .uniform_work_group_size: 1
    .uses_dynamic_stack: false
    .vgpr_count:     19
    .vgpr_spill_count: 0
    .wavefront_size: 64
  - .args:
      - .offset:         0
        .size:           4
        .value_kind:     by_value
      - .offset:         4
        .size:           4
        .value_kind:     by_value
      - .offset:         8
        .size:           4
        .value_kind:     by_value
      - .actual_access:  read_only
        .address_space:  global
        .offset:         16
        .size:           8
        .value_kind:     global_buffer
      - .actual_access:  read_only
        .address_space:  global
        .offset:         24
        .size:           8
        .value_kind:     global_buffer
      - .actual_access:  read_only
        .address_space:  global
        .offset:         32
        .size:           8
        .value_kind:     global_buffer
      - .offset:         40
        .size:           4
        .value_kind:     by_value
      - .offset:         44
        .size:           4
        .value_kind:     by_value
      - .actual_access:  write_only
        .address_space:  global
        .offset:         48
        .size:           8
        .value_kind:     global_buffer
      - .actual_access:  read_only
        .address_space:  global
        .offset:         56
        .size:           8
        .value_kind:     global_buffer
      - .actual_access:  write_only
        .address_space:  global
        .offset:         64
        .size:           8
        .value_kind:     global_buffer
      - .offset:         72
        .size:           8
        .value_kind:     by_value
      - .offset:         80
        .size:           1
        .value_kind:     by_value
    .group_segment_fixed_size: 0
    .kernarg_segment_align: 8
    .kernarg_segment_size: 84
    .language:       OpenCL C
    .language_version:
      - 2
      - 0
    .max_flat_workgroup_size: 1024
    .name:           _ZN9rocsparseL23csr2csr_compress_kernelILi1024ELi128ELi8ELi64EdEEvii21rocsparse_index_base_PKT3_PKiS6_iS1_PS2_S6_PiNS_24const_host_device_scalarIS2_EEb
    .private_segment_fixed_size: 0
    .sgpr_count:     22
    .sgpr_spill_count: 0
    .symbol:         _ZN9rocsparseL23csr2csr_compress_kernelILi1024ELi128ELi8ELi64EdEEvii21rocsparse_index_base_PKT3_PKiS6_iS1_PS2_S6_PiNS_24const_host_device_scalarIS2_EEb.kd
    .uniform_work_group_size: 1
    .uses_dynamic_stack: false
    .vgpr_count:     19
    .vgpr_spill_count: 0
    .wavefront_size: 64
  - .args:
      - .offset:         0
        .size:           4
        .value_kind:     by_value
      - .offset:         4
        .size:           4
        .value_kind:     by_value
      - .offset:         8
        .size:           4
        .value_kind:     by_value
      - .actual_access:  read_only
        .address_space:  global
        .offset:         16
        .size:           8
        .value_kind:     global_buffer
      - .actual_access:  read_only
        .address_space:  global
        .offset:         24
        .size:           8
        .value_kind:     global_buffer
      - .actual_access:  read_only
        .address_space:  global
        .offset:         32
        .size:           8
        .value_kind:     global_buffer
      - .offset:         40
        .size:           4
        .value_kind:     by_value
      - .offset:         44
        .size:           4
        .value_kind:     by_value
      - .actual_access:  write_only
        .address_space:  global
        .offset:         48
        .size:           8
        .value_kind:     global_buffer
      - .actual_access:  read_only
        .address_space:  global
        .offset:         56
        .size:           8
        .value_kind:     global_buffer
      - .actual_access:  write_only
        .address_space:  global
        .offset:         64
        .size:           8
        .value_kind:     global_buffer
      - .offset:         72
        .size:           8
        .value_kind:     by_value
      - .offset:         80
        .size:           1
        .value_kind:     by_value
    .group_segment_fixed_size: 0
    .kernarg_segment_align: 8
    .kernarg_segment_size: 84
    .language:       OpenCL C
    .language_version:
      - 2
      - 0
    .max_flat_workgroup_size: 1024
    .name:           _ZN9rocsparseL23csr2csr_compress_kernelILi1024ELi64ELi16ELi64EdEEvii21rocsparse_index_base_PKT3_PKiS6_iS1_PS2_S6_PiNS_24const_host_device_scalarIS2_EEb
    .private_segment_fixed_size: 0
    .sgpr_count:     22
    .sgpr_spill_count: 0
    .symbol:         _ZN9rocsparseL23csr2csr_compress_kernelILi1024ELi64ELi16ELi64EdEEvii21rocsparse_index_base_PKT3_PKiS6_iS1_PS2_S6_PiNS_24const_host_device_scalarIS2_EEb.kd
    .uniform_work_group_size: 1
    .uses_dynamic_stack: false
    .vgpr_count:     19
    .vgpr_spill_count: 0
    .wavefront_size: 64
  - .args:
      - .offset:         0
        .size:           4
        .value_kind:     by_value
      - .offset:         4
        .size:           4
        .value_kind:     by_value
      - .offset:         8
        .size:           4
        .value_kind:     by_value
      - .actual_access:  read_only
        .address_space:  global
        .offset:         16
        .size:           8
        .value_kind:     global_buffer
      - .actual_access:  read_only
        .address_space:  global
        .offset:         24
        .size:           8
        .value_kind:     global_buffer
      - .actual_access:  read_only
        .address_space:  global
        .offset:         32
        .size:           8
        .value_kind:     global_buffer
      - .offset:         40
        .size:           4
        .value_kind:     by_value
      - .offset:         44
        .size:           4
        .value_kind:     by_value
      - .actual_access:  write_only
        .address_space:  global
        .offset:         48
        .size:           8
        .value_kind:     global_buffer
      - .actual_access:  read_only
        .address_space:  global
        .offset:         56
        .size:           8
        .value_kind:     global_buffer
      - .actual_access:  write_only
        .address_space:  global
        .offset:         64
        .size:           8
        .value_kind:     global_buffer
      - .offset:         72
        .size:           8
        .value_kind:     by_value
      - .offset:         80
        .size:           1
        .value_kind:     by_value
    .group_segment_fixed_size: 0
    .kernarg_segment_align: 8
    .kernarg_segment_size: 84
    .language:       OpenCL C
    .language_version:
      - 2
      - 0
    .max_flat_workgroup_size: 1024
    .name:           _ZN9rocsparseL23csr2csr_compress_kernelILi1024ELi32ELi32ELi64EdEEvii21rocsparse_index_base_PKT3_PKiS6_iS1_PS2_S6_PiNS_24const_host_device_scalarIS2_EEb
    .private_segment_fixed_size: 0
    .sgpr_count:     22
    .sgpr_spill_count: 0
    .symbol:         _ZN9rocsparseL23csr2csr_compress_kernelILi1024ELi32ELi32ELi64EdEEvii21rocsparse_index_base_PKT3_PKiS6_iS1_PS2_S6_PiNS_24const_host_device_scalarIS2_EEb.kd
    .uniform_work_group_size: 1
    .uses_dynamic_stack: false
    .vgpr_count:     19
    .vgpr_spill_count: 0
    .wavefront_size: 64
  - .args:
      - .offset:         0
        .size:           4
        .value_kind:     by_value
      - .offset:         4
        .size:           4
        .value_kind:     by_value
      - .offset:         8
        .size:           4
        .value_kind:     by_value
      - .actual_access:  read_only
        .address_space:  global
        .offset:         16
        .size:           8
        .value_kind:     global_buffer
      - .actual_access:  read_only
        .address_space:  global
        .offset:         24
        .size:           8
        .value_kind:     global_buffer
      - .actual_access:  read_only
        .address_space:  global
        .offset:         32
        .size:           8
        .value_kind:     global_buffer
      - .offset:         40
        .size:           4
        .value_kind:     by_value
      - .offset:         44
        .size:           4
        .value_kind:     by_value
      - .actual_access:  write_only
        .address_space:  global
        .offset:         48
        .size:           8
        .value_kind:     global_buffer
      - .actual_access:  read_only
        .address_space:  global
        .offset:         56
        .size:           8
        .value_kind:     global_buffer
      - .actual_access:  write_only
        .address_space:  global
        .offset:         64
        .size:           8
        .value_kind:     global_buffer
      - .offset:         72
        .size:           8
        .value_kind:     by_value
      - .offset:         80
        .size:           1
        .value_kind:     by_value
    .group_segment_fixed_size: 0
    .kernarg_segment_align: 8
    .kernarg_segment_size: 84
    .language:       OpenCL C
    .language_version:
      - 2
      - 0
    .max_flat_workgroup_size: 1024
    .name:           _ZN9rocsparseL23csr2csr_compress_kernelILi1024ELi16ELi64ELi64EdEEvii21rocsparse_index_base_PKT3_PKiS6_iS1_PS2_S6_PiNS_24const_host_device_scalarIS2_EEb
    .private_segment_fixed_size: 0
    .sgpr_count:     22
    .sgpr_spill_count: 0
    .symbol:         _ZN9rocsparseL23csr2csr_compress_kernelILi1024ELi16ELi64ELi64EdEEvii21rocsparse_index_base_PKT3_PKiS6_iS1_PS2_S6_PiNS_24const_host_device_scalarIS2_EEb.kd
    .uniform_work_group_size: 1
    .uses_dynamic_stack: false
    .vgpr_count:     19
    .vgpr_spill_count: 0
    .wavefront_size: 64
amdhsa.target:   amdgcn-amd-amdhsa--gfx906
amdhsa.version:
  - 1
  - 2
...

	.end_amdgpu_metadata
